;; amdgpu-corpus repo=ROCm/rocFFT kind=compiled arch=gfx906 opt=O3
	.text
	.amdgcn_target "amdgcn-amd-amdhsa--gfx906"
	.amdhsa_code_object_version 6
	.protected	bluestein_single_fwd_len560_dim1_dp_op_CI_CI ; -- Begin function bluestein_single_fwd_len560_dim1_dp_op_CI_CI
	.globl	bluestein_single_fwd_len560_dim1_dp_op_CI_CI
	.p2align	8
	.type	bluestein_single_fwd_len560_dim1_dp_op_CI_CI,@function
bluestein_single_fwd_len560_dim1_dp_op_CI_CI: ; @bluestein_single_fwd_len560_dim1_dp_op_CI_CI
; %bb.0:
	s_load_dwordx4 s[8:11], s[4:5], 0x28
	v_mul_u32_u24_e32 v1, 0x493, v0
	v_add_u32_sdwa v158, s6, v1 dst_sel:DWORD dst_unused:UNUSED_PAD src0_sel:DWORD src1_sel:WORD_1
	v_mov_b32_e32 v159, 0
	s_waitcnt lgkmcnt(0)
	v_cmp_gt_u64_e32 vcc, s[8:9], v[158:159]
	s_and_saveexec_b64 s[0:1], vcc
	s_cbranch_execz .LBB0_23
; %bb.1:
	s_load_dwordx4 s[0:3], s[4:5], 0x18
	s_load_dwordx2 s[6:7], s[4:5], 0x0
	v_mov_b32_e32 v2, 56
	v_mul_lo_u16_sdwa v1, v1, v2 dst_sel:DWORD dst_unused:UNUSED_PAD src0_sel:WORD_1 src1_sel:DWORD
	v_sub_u16_e32 v160, v0, v1
	s_waitcnt lgkmcnt(0)
	s_load_dwordx4 s[12:15], s[0:1], 0x0
	v_lshlrev_b32_e32 v159, 4, v160
	s_waitcnt lgkmcnt(0)
	v_mad_u64_u32 v[0:1], s[0:1], s14, v158, 0
	v_mad_u64_u32 v[2:3], s[0:1], s12, v160, 0
	;; [unrolled: 1-line block ×4, first 2 shown]
	v_mov_b32_e32 v1, v4
	v_lshlrev_b64 v[0:1], 4, v[0:1]
	v_mov_b32_e32 v6, s11
	v_mov_b32_e32 v3, v5
	v_add_co_u32_e32 v36, vcc, s10, v0
	v_addc_co_u32_e32 v37, vcc, v6, v1, vcc
	v_lshlrev_b64 v[0:1], 4, v[2:3]
	s_mul_i32 s0, s13, 0x46
	v_add_co_u32_e32 v0, vcc, v36, v0
	v_addc_co_u32_e32 v1, vcc, v37, v1, vcc
	s_mul_hi_u32 s1, s12, 0x46
	v_mov_b32_e32 v2, s7
	v_add_co_u32_e32 v156, vcc, s6, v159
	s_add_i32 s1, s1, s0
	s_mul_i32 s0, s12, 0x46
	v_addc_co_u32_e32 v157, vcc, 0, v2, vcc
	s_lshl_b64 s[16:17], s[0:1], 4
	v_mov_b32_e32 v10, s17
	v_add_co_u32_e32 v2, vcc, s16, v0
	v_addc_co_u32_e32 v3, vcc, v1, v10, vcc
	global_load_dwordx4 v[38:41], v[0:1], off
	global_load_dwordx4 v[42:45], v[2:3], off
	global_load_dwordx4 v[28:31], v159, s[6:7]
	global_load_dwordx4 v[16:19], v159, s[6:7] offset:1120
	v_add_co_u32_e32 v0, vcc, s16, v2
	v_addc_co_u32_e32 v1, vcc, v3, v10, vcc
	v_add_co_u32_e32 v2, vcc, s16, v0
	v_addc_co_u32_e32 v3, vcc, v1, v10, vcc
	global_load_dwordx4 v[46:49], v[0:1], off
	global_load_dwordx4 v[50:53], v[2:3], off
	global_load_dwordx4 v[20:23], v159, s[6:7] offset:2240
	global_load_dwordx4 v[4:7], v159, s[6:7] offset:3360
	v_add_co_u32_e32 v0, vcc, s16, v2
	v_addc_co_u32_e32 v1, vcc, v3, v10, vcc
	s_movk_i32 s0, 0x1000
	v_add_co_u32_e32 v32, vcc, s0, v156
	v_addc_co_u32_e32 v33, vcc, 0, v157, vcc
	v_add_co_u32_e32 v8, vcc, s16, v0
	v_addc_co_u32_e32 v9, vcc, v1, v10, vcc
	global_load_dwordx4 v[54:57], v[0:1], off
	global_load_dwordx4 v[58:61], v[8:9], off
	global_load_dwordx4 v[24:27], v[32:33], off offset:384
	s_nop 0
	global_load_dwordx4 v[0:3], v[32:33], off offset:1504
	v_add_co_u32_e32 v8, vcc, s16, v8
	v_addc_co_u32_e32 v9, vcc, v9, v10, vcc
	global_load_dwordx4 v[62:65], v[8:9], off
	v_add_co_u32_e32 v34, vcc, s16, v8
	v_addc_co_u32_e32 v35, vcc, v9, v10, vcc
	global_load_dwordx4 v[8:11], v[32:33], off offset:2624
	global_load_dwordx4 v[12:15], v[32:33], off offset:3744
	global_load_dwordx4 v[66:69], v[34:35], off
	s_load_dwordx2 s[14:15], s[4:5], 0x38
	s_load_dwordx4 s[8:11], s[2:3], 0x0
	v_cmp_gt_u16_e32 vcc, 14, v160
	s_waitcnt vmcnt(13)
	v_mul_f64 v[70:71], v[40:41], v[30:31]
	v_mul_f64 v[72:73], v[38:39], v[30:31]
	s_waitcnt vmcnt(12)
	v_mul_f64 v[74:75], v[44:45], v[18:19]
	v_mul_f64 v[76:77], v[42:43], v[18:19]
	v_fma_f64 v[38:39], v[38:39], v[28:29], v[70:71]
	s_waitcnt vmcnt(9)
	v_mul_f64 v[78:79], v[48:49], v[22:23]
	v_mul_f64 v[80:81], v[46:47], v[22:23]
	s_waitcnt vmcnt(8)
	v_mul_f64 v[82:83], v[52:53], v[6:7]
	v_mul_f64 v[84:85], v[50:51], v[6:7]
	v_fma_f64 v[40:41], v[40:41], v[28:29], -v[72:73]
	v_fma_f64 v[42:43], v[42:43], v[16:17], v[74:75]
	v_fma_f64 v[44:45], v[44:45], v[16:17], -v[76:77]
	v_fma_f64 v[46:47], v[46:47], v[20:21], v[78:79]
	;; [unrolled: 2-line block ×3, first 2 shown]
	v_fma_f64 v[52:53], v[52:53], v[4:5], -v[84:85]
	s_waitcnt vmcnt(5)
	v_mul_f64 v[86:87], v[56:57], v[26:27]
	v_mul_f64 v[88:89], v[54:55], v[26:27]
	s_waitcnt vmcnt(4)
	v_mul_f64 v[90:91], v[60:61], v[2:3]
	v_mul_f64 v[92:93], v[58:59], v[2:3]
	v_fma_f64 v[54:55], v[54:55], v[24:25], v[86:87]
	s_waitcnt vmcnt(2)
	v_mul_f64 v[94:95], v[64:65], v[10:11]
	v_mul_f64 v[96:97], v[62:63], v[10:11]
	s_waitcnt vmcnt(0)
	v_mul_f64 v[98:99], v[68:69], v[14:15]
	v_mul_f64 v[100:101], v[66:67], v[14:15]
	v_fma_f64 v[56:57], v[56:57], v[24:25], -v[88:89]
	v_fma_f64 v[58:59], v[58:59], v[0:1], v[90:91]
	v_fma_f64 v[60:61], v[60:61], v[0:1], -v[92:93]
	v_fma_f64 v[62:63], v[62:63], v[8:9], v[94:95]
	;; [unrolled: 2-line block ×3, first 2 shown]
	v_fma_f64 v[68:69], v[68:69], v[12:13], -v[100:101]
	ds_write_b128 v159, v[38:41]
	ds_write_b128 v159, v[42:45] offset:1120
	ds_write_b128 v159, v[46:49] offset:2240
	;; [unrolled: 1-line block ×7, first 2 shown]
	s_and_saveexec_b64 s[2:3], vcc
	s_cbranch_execz .LBB0_3
; %bb.2:
	v_mov_b32_e32 v38, 0xffffe4e0
	v_mad_u64_u32 v[34:35], s[0:1], s12, v38, v[34:35]
	s_mul_i32 s0, s13, 0xffffe4e0
	s_sub_i32 s0, s0, s12
	v_add_u32_e32 v35, s0, v35
	global_load_dwordx4 v[38:41], v[34:35], off
	v_mov_b32_e32 v92, s17
	v_add_co_u32_e64 v34, s[0:1], s16, v34
	v_addc_co_u32_e64 v35, s[0:1], v35, v92, s[0:1]
	global_load_dwordx4 v[42:45], v[34:35], off
	global_load_dwordx4 v[46:49], v[156:157], off offset:896
	global_load_dwordx4 v[50:53], v[156:157], off offset:2016
	v_add_co_u32_e64 v34, s[0:1], s16, v34
	v_or_b32_e32 v74, 0x150, v160
	v_addc_co_u32_e64 v35, s[0:1], v35, v92, s[0:1]
	v_mad_u64_u32 v[70:71], s[0:1], s12, v74, 0
	global_load_dwordx4 v[54:57], v[34:35], off
	v_add_co_u32_e64 v72, s[0:1], s16, v34
	v_mov_b32_e32 v34, v71
	v_addc_co_u32_e64 v73, s[0:1], v35, v92, s[0:1]
	v_mad_u64_u32 v[34:35], s[0:1], s13, v74, v[34:35]
	global_load_dwordx4 v[58:61], v[72:73], off
	global_load_dwordx4 v[62:65], v[156:157], off offset:3136
	global_load_dwordx4 v[66:69], v[32:33], off offset:160
	v_mov_b32_e32 v71, v34
	v_lshlrev_b64 v[34:35], 4, v[70:71]
	v_mov_b32_e32 v70, 0x8c0
	v_add_co_u32_e64 v34, s[0:1], v36, v34
	v_addc_co_u32_e64 v35, s[0:1], v37, v35, s[0:1]
	v_mad_u64_u32 v[78:79], s[0:1], s12, v70, v[72:73]
	s_mul_i32 s0, s13, 0x8c0
	v_lshlrev_b32_e32 v70, 4, v74
	v_add_u32_e32 v79, s0, v79
	v_add_co_u32_e64 v90, s[0:1], s16, v78
	v_addc_co_u32_e64 v91, s[0:1], v79, v92, s[0:1]
	global_load_dwordx4 v[34:37], v[34:35], off
	s_waitcnt vmcnt(2)
	v_mul_f64 v[100:101], v[56:57], v[64:65]
	global_load_dwordx4 v[70:73], v70, s[6:7]
	v_mul_f64 v[64:65], v[54:55], v[64:65]
	global_load_dwordx4 v[74:77], v[78:79], off
	s_nop 0
	global_load_dwordx4 v[78:81], v[90:91], off
	global_load_dwordx4 v[82:85], v[32:33], off offset:2400
	global_load_dwordx4 v[86:89], v[32:33], off offset:3520
	v_add_co_u32_e64 v32, s[0:1], s16, v90
	v_addc_co_u32_e64 v33, s[0:1], v91, v92, s[0:1]
	s_movk_i32 s0, 0x2000
	v_add_co_u32_e64 v98, s[0:1], s0, v156
	v_addc_co_u32_e64 v99, s[0:1], 0, v157, s[0:1]
	global_load_dwordx4 v[90:93], v[98:99], off offset:544
	global_load_dwordx4 v[94:97], v[32:33], off
	v_mul_f64 v[32:33], v[40:41], v[48:49]
	v_mul_f64 v[98:99], v[44:45], v[52:53]
	;; [unrolled: 1-line block ×4, first 2 shown]
	s_waitcnt vmcnt(8)
	v_mul_f64 v[102:103], v[60:61], v[68:69]
	v_mul_f64 v[68:69], v[58:59], v[68:69]
	v_fma_f64 v[38:39], v[38:39], v[46:47], v[32:33]
	v_fma_f64 v[42:43], v[42:43], v[50:51], v[98:99]
	v_fma_f64 v[40:41], v[40:41], v[46:47], -v[48:49]
	v_fma_f64 v[46:47], v[54:55], v[62:63], v[100:101]
	v_fma_f64 v[48:49], v[56:57], v[62:63], -v[64:65]
	v_fma_f64 v[44:45], v[44:45], v[50:51], -v[52:53]
	v_fma_f64 v[50:51], v[58:59], v[66:67], v[102:103]
	v_fma_f64 v[52:53], v[60:61], v[66:67], -v[68:69]
	s_waitcnt vmcnt(6)
	v_mul_f64 v[32:33], v[36:37], v[72:73]
	v_mul_f64 v[72:73], v[34:35], v[72:73]
	s_waitcnt vmcnt(3)
	v_mul_f64 v[104:105], v[76:77], v[84:85]
	v_mul_f64 v[84:85], v[74:75], v[84:85]
	;; [unrolled: 3-line block ×3, first 2 shown]
	v_fma_f64 v[32:33], v[34:35], v[70:71], v[32:33]
	v_fma_f64 v[34:35], v[36:37], v[70:71], -v[72:73]
	v_fma_f64 v[54:55], v[74:75], v[82:83], v[104:105]
	v_fma_f64 v[56:57], v[76:77], v[82:83], -v[84:85]
	v_fma_f64 v[58:59], v[78:79], v[86:87], v[98:99]
	s_waitcnt vmcnt(0)
	v_mul_f64 v[62:63], v[96:97], v[92:93]
	v_mul_f64 v[64:65], v[94:95], v[92:93]
	v_fma_f64 v[60:61], v[80:81], v[86:87], -v[88:89]
	v_fma_f64 v[62:63], v[94:95], v[90:91], v[62:63]
	v_fma_f64 v[64:65], v[96:97], v[90:91], -v[64:65]
	ds_write_b128 v159, v[38:41] offset:896
	ds_write_b128 v159, v[42:45] offset:2016
	;; [unrolled: 1-line block ×8, first 2 shown]
.LBB0_3:
	s_or_b64 exec, exec, s[2:3]
	s_waitcnt lgkmcnt(0)
	; wave barrier
	s_waitcnt lgkmcnt(0)
	ds_read_b128 v[72:75], v159
	ds_read_b128 v[64:67], v159 offset:1120
	ds_read_b128 v[76:79], v159 offset:2240
	;; [unrolled: 1-line block ×7, first 2 shown]
                                        ; implicit-def: $vgpr32_vgpr33
                                        ; implicit-def: $vgpr40_vgpr41
                                        ; implicit-def: $vgpr48_vgpr49
                                        ; implicit-def: $vgpr56_vgpr57
                                        ; implicit-def: $vgpr60_vgpr61
                                        ; implicit-def: $vgpr52_vgpr53
                                        ; implicit-def: $vgpr44_vgpr45
                                        ; implicit-def: $vgpr36_vgpr37
	s_and_saveexec_b64 s[0:1], vcc
	s_cbranch_execz .LBB0_5
; %bb.4:
	ds_read_b128 v[32:35], v159 offset:896
	ds_read_b128 v[36:39], v159 offset:2016
	;; [unrolled: 1-line block ×8, first 2 shown]
.LBB0_5:
	s_or_b64 exec, exec, s[0:1]
	s_waitcnt lgkmcnt(3)
	v_add_f64 v[88:89], v[72:73], -v[88:89]
	s_waitcnt lgkmcnt(1)
	v_add_f64 v[92:93], v[76:77], -v[92:93]
	v_add_f64 v[90:91], v[74:75], -v[90:91]
	;; [unrolled: 1-line block ×5, first 2 shown]
	s_waitcnt lgkmcnt(0)
	v_add_f64 v[80:81], v[68:69], -v[80:81]
	v_add_f64 v[82:83], v[70:71], -v[82:83]
	v_fma_f64 v[72:73], v[72:73], 2.0, -v[88:89]
	s_mov_b32 s2, 0x667f3bcd
	v_add_f64 v[118:119], v[90:91], v[92:93]
	v_add_f64 v[116:117], v[88:89], -v[94:95]
	v_fma_f64 v[74:75], v[74:75], 2.0, -v[90:91]
	v_fma_f64 v[64:65], v[64:65], 2.0, -v[84:85]
	;; [unrolled: 1-line block ×4, first 2 shown]
	v_add_f64 v[82:83], v[84:85], -v[82:83]
	v_add_f64 v[80:81], v[86:87], v[80:81]
	v_fma_f64 v[66:67], v[66:67], 2.0, -v[86:87]
	v_fma_f64 v[88:89], v[88:89], 2.0, -v[116:117]
	;; [unrolled: 1-line block ×3, first 2 shown]
	s_mov_b32 s3, 0xbfe6a09e
	v_fma_f64 v[76:77], v[76:77], 2.0, -v[92:93]
	v_fma_f64 v[78:79], v[78:79], 2.0, -v[94:95]
	;; [unrolled: 1-line block ×4, first 2 shown]
	s_mov_b32 s13, 0x3fe6a09e
	s_mov_b32 s12, s2
	v_add_f64 v[68:69], v[64:65], -v[68:69]
	v_add_f64 v[70:71], v[66:67], -v[70:71]
	;; [unrolled: 1-line block ×4, first 2 shown]
	v_fma_f64 v[96:97], v[84:85], s[2:3], v[88:89]
	v_fma_f64 v[98:99], v[86:87], s[2:3], v[90:91]
	v_add_f64 v[52:53], v[32:33], -v[52:53]
	v_add_f64 v[54:55], v[34:35], -v[54:55]
	;; [unrolled: 1-line block ×6, first 2 shown]
	v_fma_f64 v[96:97], v[86:87], s[2:3], v[96:97]
	v_fma_f64 v[98:99], v[84:85], s[12:13], v[98:99]
	v_add_f64 v[56:57], v[44:45], -v[56:57]
	v_add_f64 v[58:59], v[46:47], -v[58:59]
	v_fma_f64 v[72:73], v[72:73], 2.0, -v[76:77]
	v_fma_f64 v[74:75], v[74:75], 2.0, -v[78:79]
	;; [unrolled: 1-line block ×4, first 2 shown]
	v_add_f64 v[100:101], v[76:77], -v[70:71]
	v_add_f64 v[102:103], v[78:79], v[68:69]
	v_fma_f64 v[108:109], v[88:89], 2.0, -v[96:97]
	v_fma_f64 v[110:111], v[90:91], 2.0, -v[98:99]
	;; [unrolled: 1-line block ×8, first 2 shown]
	v_add_f64 v[88:89], v[52:53], -v[62:63]
	v_add_f64 v[90:91], v[60:61], v[54:55]
	v_fma_f64 v[44:45], v[44:45], 2.0, -v[56:57]
	v_fma_f64 v[46:47], v[46:47], 2.0, -v[58:59]
	v_add_f64 v[68:69], v[48:49], -v[58:59]
	v_add_f64 v[70:71], v[56:57], v[50:51]
	v_add_f64 v[92:93], v[72:73], -v[64:65]
	v_add_f64 v[94:95], v[74:75], -v[66:67]
	v_fma_f64 v[64:65], v[82:83], s[12:13], v[116:117]
	v_fma_f64 v[66:67], v[80:81], s[12:13], v[118:119]
	v_add_f64 v[40:41], v[32:33], -v[40:41]
	v_add_f64 v[42:43], v[34:35], -v[42:43]
	v_fma_f64 v[52:53], v[52:53], 2.0, -v[88:89]
	v_fma_f64 v[54:55], v[54:55], 2.0, -v[90:91]
	v_add_f64 v[44:45], v[36:37], -v[44:45]
	v_add_f64 v[46:47], v[38:39], -v[46:47]
	v_fma_f64 v[48:49], v[48:49], 2.0, -v[68:69]
	v_fma_f64 v[50:51], v[50:51], 2.0, -v[70:71]
	v_fma_f64 v[112:113], v[76:77], 2.0, -v[100:101]
	v_fma_f64 v[114:115], v[78:79], 2.0, -v[102:103]
	v_fma_f64 v[56:57], v[80:81], s[2:3], v[64:65]
	v_fma_f64 v[58:59], v[82:83], s[12:13], v[66:67]
	v_fma_f64 v[64:65], v[32:33], 2.0, -v[40:41]
	v_fma_f64 v[66:67], v[34:35], 2.0, -v[42:43]
	;; [unrolled: 1-line block ×4, first 2 shown]
	v_fma_f64 v[60:61], v[48:49], s[2:3], v[52:53]
	v_fma_f64 v[62:63], v[50:51], s[2:3], v[54:55]
	;; [unrolled: 1-line block ×4, first 2 shown]
	v_fma_f64 v[104:105], v[72:73], 2.0, -v[92:93]
	v_fma_f64 v[106:107], v[74:75], 2.0, -v[94:95]
	v_add_f64 v[84:85], v[64:65], -v[36:37]
	v_add_f64 v[86:87], v[66:67], -v[38:39]
	v_fma_f64 v[60:61], v[50:51], s[2:3], v[60:61]
	v_fma_f64 v[62:63], v[48:49], s[12:13], v[62:63]
	v_add_f64 v[72:73], v[40:41], -v[46:47]
	v_add_f64 v[74:75], v[42:43], v[44:45]
	v_fma_f64 v[76:77], v[70:71], s[2:3], v[76:77]
	v_fma_f64 v[78:79], v[68:69], s[12:13], v[78:79]
	v_fma_f64 v[64:65], v[64:65], 2.0, -v[84:85]
	v_fma_f64 v[66:67], v[66:67], 2.0, -v[86:87]
	;; [unrolled: 1-line block ×8, first 2 shown]
	s_load_dwordx2 s[4:5], s[4:5], 0x8
	v_fma_f64 v[32:33], v[116:117], 2.0, -v[56:57]
	v_fma_f64 v[34:35], v[118:119], 2.0, -v[58:59]
	v_add_co_u32_e64 v120, s[0:1], 56, v160
	v_lshlrev_b16_e32 v36, 3, v160
	v_lshlrev_b32_e32 v163, 4, v36
	v_lshlrev_b32_e32 v162, 7, v120
	s_waitcnt lgkmcnt(0)
	; wave barrier
	s_waitcnt lgkmcnt(0)
	ds_write_b128 v163, v[104:107]
	ds_write_b128 v163, v[108:111] offset:16
	ds_write_b128 v163, v[112:115] offset:32
	;; [unrolled: 1-line block ×7, first 2 shown]
	s_and_saveexec_b64 s[0:1], vcc
	s_cbranch_execz .LBB0_7
; %bb.6:
	ds_write_b128 v162, v[64:67]
	ds_write_b128 v162, v[68:71] offset:16
	ds_write_b128 v162, v[80:83] offset:32
	;; [unrolled: 1-line block ×7, first 2 shown]
.LBB0_7:
	s_or_b64 exec, exec, s[0:1]
	s_waitcnt lgkmcnt(0)
	; wave barrier
	s_waitcnt lgkmcnt(0)
	ds_read_b128 v[92:95], v159
	ds_read_b128 v[116:119], v159 offset:1280
	ds_read_b128 v[112:115], v159 offset:2560
	ds_read_b128 v[108:111], v159 offset:3840
	ds_read_b128 v[104:107], v159 offset:5120
	ds_read_b128 v[100:103], v159 offset:6400
	ds_read_b128 v[96:99], v159 offset:7680
	v_cmp_gt_u16_e64 s[0:1], 24, v160
	s_and_saveexec_b64 s[2:3], s[0:1]
	s_cbranch_execz .LBB0_9
; %bb.8:
	ds_read_b128 v[56:59], v159 offset:896
	ds_read_b128 v[64:67], v159 offset:2176
	ds_read_b128 v[68:71], v159 offset:3456
	ds_read_b128 v[80:83], v159 offset:4736
	ds_read_b128 v[88:91], v159 offset:6016
	ds_read_b128 v[84:87], v159 offset:7296
	ds_read_b128 v[60:63], v159 offset:8576
.LBB0_9:
	s_or_b64 exec, exec, s[2:3]
	v_and_b32_e32 v161, 7, v160
	v_mul_u32_u24_e32 v32, 6, v161
	v_lshlrev_b32_e32 v48, 4, v32
	global_load_dwordx4 v[40:43], v48, s[4:5]
	global_load_dwordx4 v[44:47], v48, s[4:5] offset:16
	global_load_dwordx4 v[36:39], v48, s[4:5] offset:32
	;; [unrolled: 1-line block ×4, first 2 shown]
	s_nop 0
	global_load_dwordx4 v[48:51], v48, s[4:5] offset:80
	s_mov_b32 s12, 0x37e14327
	s_mov_b32 s2, 0x36b3c0b5
	s_mov_b32 s18, 0xe976ee23
	s_mov_b32 s13, 0x3fe948f6
	s_mov_b32 s3, 0x3fac98ee
	s_mov_b32 s19, 0xbfe11646
	s_mov_b32 s16, 0x429ad128
	s_mov_b32 s20, 0xaaaaaaaa
	s_mov_b32 s22, 0x5476071b
	s_mov_b32 s17, 0x3febfeb5
	s_mov_b32 s21, 0xbff2aaaa
	s_mov_b32 s23, 0x3fe77f67
	s_mov_b32 s25, 0xbfe77f67
	s_mov_b32 s24, s22
	s_mov_b32 s28, 0xb247c609
	s_mov_b32 s26, 0x37c3f68c
	s_mov_b32 s29, 0x3fd5d0dc
	s_mov_b32 s31, 0xbfd5d0dc
	s_mov_b32 s27, 0x3fdc38aa
	s_mov_b32 s30, s28
	s_waitcnt lgkmcnt(0)
	; wave barrier
	s_waitcnt vmcnt(5) lgkmcnt(0)
	v_mul_f64 v[121:122], v[118:119], v[42:43]
	v_mul_f64 v[123:124], v[116:117], v[42:43]
	s_waitcnt vmcnt(4)
	v_mul_f64 v[125:126], v[114:115], v[46:47]
	v_mul_f64 v[127:128], v[112:113], v[46:47]
	s_waitcnt vmcnt(1)
	;; [unrolled: 3-line block ×3, first 2 shown]
	v_mul_f64 v[141:142], v[98:99], v[50:51]
	v_mul_f64 v[143:144], v[96:97], v[50:51]
	;; [unrolled: 1-line block ×10, first 2 shown]
	v_fma_f64 v[116:117], v[116:117], v[40:41], -v[121:122]
	v_fma_f64 v[118:119], v[118:119], v[40:41], v[123:124]
	v_fma_f64 v[112:113], v[112:113], v[44:45], -v[125:126]
	v_fma_f64 v[114:115], v[114:115], v[44:45], v[127:128]
	;; [unrolled: 2-line block ×8, first 2 shown]
	v_add_f64 v[84:85], v[116:117], v[96:97]
	v_add_f64 v[86:87], v[118:119], v[98:99]
	v_add_f64 v[88:89], v[116:117], -v[96:97]
	v_add_f64 v[90:91], v[118:119], -v[98:99]
	v_add_f64 v[96:97], v[112:113], v[100:101]
	v_add_f64 v[98:99], v[114:115], v[102:103]
	v_add_f64 v[100:101], v[112:113], -v[100:101]
	v_add_f64 v[102:103], v[114:115], -v[102:103]
	v_add_f64 v[112:113], v[108:109], v[104:105]
	v_add_f64 v[114:115], v[110:111], v[106:107]
	v_add_f64 v[104:105], v[104:105], -v[108:109]
	v_add_f64 v[106:107], v[106:107], -v[110:111]
	v_add_f64 v[108:109], v[96:97], v[84:85]
	v_add_f64 v[110:111], v[98:99], v[86:87]
	v_add_f64 v[116:117], v[96:97], -v[84:85]
	v_add_f64 v[118:119], v[98:99], -v[86:87]
	v_add_f64 v[84:85], v[84:85], -v[112:113]
	v_add_f64 v[86:87], v[86:87], -v[114:115]
	;; [unrolled: 1-line block ×4, first 2 shown]
	v_add_f64 v[121:122], v[104:105], v[100:101]
	v_add_f64 v[123:124], v[106:107], v[102:103]
	v_add_f64 v[125:126], v[104:105], -v[100:101]
	v_add_f64 v[127:128], v[106:107], -v[102:103]
	v_add_f64 v[108:109], v[112:113], v[108:109]
	v_add_f64 v[110:111], v[114:115], v[110:111]
	v_add_f64 v[104:105], v[88:89], -v[104:105]
	v_add_f64 v[106:107], v[90:91], -v[106:107]
	;; [unrolled: 1-line block ×4, first 2 shown]
	v_add_f64 v[88:89], v[121:122], v[88:89]
	v_add_f64 v[90:91], v[123:124], v[90:91]
	v_mul_f64 v[112:113], v[84:85], s[12:13]
	v_mul_f64 v[114:115], v[86:87], s[12:13]
	;; [unrolled: 1-line block ×6, first 2 shown]
	v_add_f64 v[84:85], v[92:93], v[108:109]
	v_add_f64 v[86:87], v[94:95], v[110:111]
	v_mul_f64 v[145:146], v[66:67], v[42:43]
	v_mul_f64 v[147:148], v[64:65], v[42:43]
	v_mul_f64 v[149:150], v[70:71], v[46:47]
	v_mul_f64 v[151:152], v[68:69], v[46:47]
	v_mul_f64 v[174:175], v[62:63], v[50:51]
	v_mul_f64 v[176:177], v[60:61], v[50:51]
	v_mul_f64 v[137:138], v[100:101], s[16:17]
	v_mul_f64 v[139:140], v[102:103], s[16:17]
	v_fma_f64 v[92:93], v[96:97], s[2:3], v[112:113]
	v_fma_f64 v[94:95], v[98:99], s[2:3], v[114:115]
	v_fma_f64 v[96:97], v[116:117], s[22:23], -v[121:122]
	v_fma_f64 v[98:99], v[118:119], s[22:23], -v[123:124]
	;; [unrolled: 1-line block ×6, first 2 shown]
	v_fma_f64 v[108:109], v[108:109], s[20:21], v[84:85]
	v_fma_f64 v[110:111], v[110:111], s[20:21], v[86:87]
	v_mul_f64 v[153:154], v[82:83], v[38:39]
	v_mul_f64 v[164:165], v[80:81], v[38:39]
	v_fma_f64 v[64:65], v[64:65], v[40:41], -v[145:146]
	v_fma_f64 v[66:67], v[66:67], v[40:41], v[147:148]
	v_fma_f64 v[68:69], v[68:69], v[44:45], -v[149:150]
	v_fma_f64 v[70:71], v[70:71], v[44:45], v[151:152]
	v_fma_f64 v[116:117], v[104:105], s[28:29], v[125:126]
	;; [unrolled: 1-line block ×3, first 2 shown]
	v_fma_f64 v[104:105], v[104:105], s[30:31], -v[137:138]
	v_fma_f64 v[106:107], v[106:107], s[30:31], -v[139:140]
	v_fma_f64 v[100:101], v[88:89], s[26:27], v[100:101]
	v_fma_f64 v[102:103], v[90:91], s[26:27], v[102:103]
	v_add_f64 v[137:138], v[92:93], v[108:109]
	v_add_f64 v[139:140], v[94:95], v[110:111]
	;; [unrolled: 1-line block ×6, first 2 shown]
	v_fma_f64 v[60:61], v[60:61], v[48:49], -v[174:175]
	v_fma_f64 v[62:63], v[62:63], v[48:49], v[176:177]
	v_fma_f64 v[80:81], v[80:81], v[36:37], -v[153:154]
	v_fma_f64 v[82:83], v[82:83], v[36:37], v[164:165]
	v_fma_f64 v[127:128], v[88:89], s[26:27], v[116:117]
	;; [unrolled: 1-line block ×5, first 2 shown]
	v_add_f64 v[96:97], v[108:109], -v[102:103]
	v_add_f64 v[98:99], v[100:101], v[110:111]
	v_add_f64 v[116:117], v[102:103], v[108:109]
	v_add_f64 v[118:119], v[110:111], -v[100:101]
	v_add_f64 v[100:101], v[64:65], v[60:61]
	v_add_f64 v[102:103], v[66:67], v[62:63]
	v_add_f64 v[60:61], v[64:65], -v[60:61]
	v_add_f64 v[62:63], v[66:67], -v[62:63]
	v_add_f64 v[64:65], v[68:69], v[133:134]
	v_add_f64 v[66:67], v[70:71], v[135:136]
	;; [unrolled: 1-line block ×3, first 2 shown]
	v_add_f64 v[94:95], v[114:115], -v[104:105]
	v_add_f64 v[121:122], v[112:113], -v[106:107]
	v_add_f64 v[123:124], v[104:105], v[114:115]
	v_add_f64 v[68:69], v[68:69], -v[133:134]
	v_add_f64 v[70:71], v[70:71], -v[135:136]
	v_add_f64 v[104:105], v[80:81], v[129:130]
	v_add_f64 v[106:107], v[82:83], v[131:132]
	v_add_f64 v[80:81], v[129:130], -v[80:81]
	v_add_f64 v[82:83], v[131:132], -v[82:83]
	v_add_f64 v[108:109], v[64:65], v[100:101]
	v_add_f64 v[110:111], v[66:67], v[102:103]
	v_add_f64 v[112:113], v[64:65], -v[100:101]
	v_add_f64 v[114:115], v[66:67], -v[102:103]
	;; [unrolled: 1-line block ×6, first 2 shown]
	v_add_f64 v[129:130], v[80:81], v[68:69]
	v_add_f64 v[131:132], v[82:83], v[70:71]
	v_add_f64 v[133:134], v[80:81], -v[68:69]
	v_add_f64 v[135:136], v[82:83], -v[70:71]
	v_add_f64 v[104:105], v[104:105], v[108:109]
	v_add_f64 v[106:107], v[106:107], v[110:111]
	v_add_f64 v[68:69], v[68:69], -v[60:61]
	v_add_f64 v[70:71], v[70:71], -v[62:63]
	;; [unrolled: 1-line block ×4, first 2 shown]
	v_add_f64 v[108:109], v[129:130], v[60:61]
	v_add_f64 v[110:111], v[131:132], v[62:63]
	;; [unrolled: 1-line block ×4, first 2 shown]
	v_mul_f64 v[60:61], v[100:101], s[12:13]
	v_mul_f64 v[62:63], v[102:103], s[12:13]
	;; [unrolled: 1-line block ×8, first 2 shown]
	v_add_f64 v[88:89], v[125:126], v[137:138]
	v_add_f64 v[90:91], v[139:140], -v[127:128]
	v_add_f64 v[125:126], v[137:138], -v[125:126]
	v_add_f64 v[127:128], v[127:128], v[139:140]
	v_fma_f64 v[104:105], v[104:105], s[20:21], v[56:57]
	v_fma_f64 v[106:107], v[106:107], s[20:21], v[58:59]
	;; [unrolled: 1-line block ×4, first 2 shown]
	v_fma_f64 v[100:101], v[112:113], s[22:23], -v[100:101]
	v_fma_f64 v[102:103], v[114:115], s[22:23], -v[102:103]
	;; [unrolled: 1-line block ×4, first 2 shown]
	v_fma_f64 v[137:138], v[80:81], s[28:29], v[129:130]
	v_fma_f64 v[139:140], v[82:83], s[28:29], v[131:132]
	v_fma_f64 v[70:71], v[70:71], s[16:17], -v[131:132]
	v_fma_f64 v[68:69], v[68:69], s[16:17], -v[129:130]
	;; [unrolled: 1-line block ×4, first 2 shown]
	v_add_f64 v[60:61], v[64:65], v[104:105]
	v_add_f64 v[62:63], v[66:67], v[106:107]
	;; [unrolled: 1-line block ×4, first 2 shown]
	v_fma_f64 v[135:136], v[110:111], s[26:27], v[70:71]
	v_fma_f64 v[141:142], v[108:109], s[26:27], v[68:69]
	v_add_f64 v[64:65], v[112:113], v[104:105]
	v_add_f64 v[80:81], v[114:115], v[106:107]
	v_fma_f64 v[66:67], v[110:111], s[26:27], v[82:83]
	v_fma_f64 v[82:83], v[108:109], s[26:27], v[129:130]
	;; [unrolled: 1-line block ×4, first 2 shown]
	v_add_f64 v[100:101], v[131:132], -v[135:136]
	v_add_f64 v[102:103], v[141:142], v[133:134]
	v_add_f64 v[104:105], v[135:136], v[131:132]
	v_add_f64 v[106:107], v[133:134], -v[141:142]
	v_add_f64 v[108:109], v[64:65], -v[66:67]
	v_add_f64 v[110:111], v[82:83], v[80:81]
	v_add_f64 v[112:113], v[60:61], -v[68:69]
	v_add_f64 v[114:115], v[70:71], v[62:63]
	v_lshrrev_b32_e32 v129, 3, v160
	v_mul_u32_u24_e32 v129, 56, v129
	v_or_b32_e32 v129, v129, v161
	v_lshlrev_b32_e32 v165, 4, v129
	v_lshrrev_b32_e32 v164, 3, v120
	ds_write_b128 v165, v[84:87]
	ds_write_b128 v165, v[88:91] offset:128
	ds_write_b128 v165, v[92:95] offset:256
	;; [unrolled: 1-line block ×6, first 2 shown]
	s_and_saveexec_b64 s[2:3], s[0:1]
	s_cbranch_execz .LBB0_11
; %bb.10:
	v_add_f64 v[62:63], v[62:63], -v[70:71]
	v_add_f64 v[60:61], v[68:69], v[60:61]
	v_add_f64 v[82:83], v[80:81], -v[82:83]
	v_add_f64 v[80:81], v[66:67], v[64:65]
	v_mul_u32_u24_e32 v64, 56, v164
	v_or_b32_e32 v64, v64, v161
	v_lshlrev_b32_e32 v64, 4, v64
	ds_write_b128 v64, v[56:59]
	ds_write_b128 v64, v[60:63] offset:128
	ds_write_b128 v64, v[80:83] offset:256
	;; [unrolled: 1-line block ×6, first 2 shown]
.LBB0_11:
	s_or_b64 exec, exec, s[2:3]
	v_lshlrev_b32_e32 v136, 6, v160
	s_waitcnt lgkmcnt(0)
	; wave barrier
	s_waitcnt lgkmcnt(0)
	global_load_dwordx4 v[68:71], v136, s[4:5] offset:768
	global_load_dwordx4 v[64:67], v136, s[4:5] offset:784
	;; [unrolled: 1-line block ×4, first 2 shown]
	ds_read_b128 v[80:83], v159
	ds_read_b128 v[84:87], v159 offset:896
	ds_read_b128 v[88:91], v159 offset:1792
	;; [unrolled: 1-line block ×9, first 2 shown]
	v_mov_b32_e32 v137, s5
	v_add_co_u32_e64 v192, s[2:3], s4, v136
	v_addc_co_u32_e64 v193, s[2:3], 0, v137, s[2:3]
	s_mov_b32 s18, 0x134454ff
	s_mov_b32 s19, 0x3fee6f0e
	;; [unrolled: 1-line block ×10, first 2 shown]
	s_waitcnt lgkmcnt(0)
	; wave barrier
	s_waitcnt vmcnt(3) lgkmcnt(0)
	v_mul_f64 v[136:137], v[90:91], v[70:71]
	v_mul_f64 v[138:139], v[88:89], v[70:71]
	s_waitcnt vmcnt(2)
	v_mul_f64 v[140:141], v[98:99], v[66:67]
	v_mul_f64 v[142:143], v[96:97], v[66:67]
	s_waitcnt vmcnt(1)
	;; [unrolled: 3-line block ×3, first 2 shown]
	v_mul_f64 v[148:149], v[130:131], v[58:59]
	v_mul_f64 v[150:151], v[128:129], v[58:59]
	;; [unrolled: 1-line block ×7, first 2 shown]
	v_fma_f64 v[88:89], v[88:89], v[68:69], -v[136:137]
	v_fma_f64 v[90:91], v[90:91], v[68:69], v[138:139]
	v_fma_f64 v[96:97], v[96:97], v[64:65], -v[140:141]
	v_fma_f64 v[98:99], v[98:99], v[64:65], v[142:143]
	;; [unrolled: 2-line block ×4, first 2 shown]
	v_mul_f64 v[168:169], v[116:117], v[66:67]
	v_mul_f64 v[172:173], v[124:125], v[62:63]
	;; [unrolled: 1-line block ×3, first 2 shown]
	v_fma_f64 v[136:137], v[92:93], v[68:69], -v[152:153]
	v_fma_f64 v[138:139], v[94:95], v[68:69], v[154:155]
	v_fma_f64 v[140:141], v[116:117], v[64:65], -v[166:167]
	v_fma_f64 v[124:125], v[124:125], v[60:61], -v[170:171]
	;; [unrolled: 1-line block ×3, first 2 shown]
	v_add_f64 v[92:93], v[80:81], v[88:89]
	v_add_f64 v[144:145], v[88:89], -v[96:97]
	v_add_f64 v[146:147], v[128:129], -v[120:121]
	v_add_f64 v[154:155], v[82:83], v[90:91]
	v_add_f64 v[166:167], v[98:99], v[122:123]
	;; [unrolled: 1-line block ×5, first 2 shown]
	v_fma_f64 v[142:143], v[118:119], v[64:65], v[168:169]
	v_fma_f64 v[126:127], v[126:127], v[60:61], v[172:173]
	;; [unrolled: 1-line block ×3, first 2 shown]
	v_add_f64 v[116:117], v[90:91], -v[130:131]
	v_add_f64 v[118:119], v[98:99], -v[122:123]
	;; [unrolled: 1-line block ×10, first 2 shown]
	v_add_f64 v[178:179], v[84:85], v[136:137]
	v_add_f64 v[180:181], v[140:141], v[124:125]
	;; [unrolled: 1-line block ×5, first 2 shown]
	v_fma_f64 v[146:147], v[166:167], -0.5, v[82:83]
	v_fma_f64 v[82:83], v[174:175], -0.5, v[82:83]
	;; [unrolled: 1-line block ×4, first 2 shown]
	v_add_f64 v[182:183], v[138:139], -v[134:135]
	v_add_f64 v[144:145], v[150:151], v[152:153]
	v_add_f64 v[148:149], v[170:171], v[172:173]
	;; [unrolled: 1-line block ×4, first 2 shown]
	v_fma_f64 v[152:153], v[180:181], -0.5, v[84:85]
	v_add_f64 v[98:99], v[98:99], v[122:123]
	v_fma_f64 v[122:123], v[88:89], s[22:23], v[146:147]
	v_fma_f64 v[172:173], v[168:169], s[18:19], v[82:83]
	v_add_f64 v[92:93], v[92:93], v[120:121]
	v_fma_f64 v[120:121], v[116:117], s[18:19], v[94:95]
	v_fma_f64 v[94:95], v[116:117], s[22:23], v[94:95]
	;; [unrolled: 1-line block ×6, first 2 shown]
	v_add_f64 v[184:185], v[142:143], -v[126:127]
	v_add_f64 v[176:177], v[90:91], v[124:125]
	v_fma_f64 v[90:91], v[182:183], s[18:19], v[152:153]
	v_add_f64 v[82:83], v[98:99], v[130:131]
	v_fma_f64 v[98:99], v[168:169], s[20:21], v[122:123]
	v_fma_f64 v[122:123], v[88:89], s[20:21], v[172:173]
	v_add_f64 v[80:81], v[92:93], v[128:129]
	v_fma_f64 v[92:93], v[118:119], s[12:13], v[120:121]
	v_fma_f64 v[94:95], v[118:119], s[20:21], v[94:95]
	;; [unrolled: 1-line block ×3, first 2 shown]
	v_add_f64 v[186:187], v[136:137], -v[140:141]
	v_add_f64 v[188:189], v[132:133], -v[124:125]
	v_add_f64 v[190:191], v[136:137], v[132:133]
	v_fma_f64 v[118:119], v[116:117], s[12:13], v[166:167]
	v_fma_f64 v[116:117], v[116:117], s[20:21], v[170:171]
	;; [unrolled: 1-line block ×6, first 2 shown]
	v_add_f64 v[122:123], v[142:143], v[126:127]
	v_fma_f64 v[88:89], v[96:97], s[16:17], v[92:93]
	v_fma_f64 v[92:93], v[96:97], s[16:17], v[94:95]
	;; [unrolled: 1-line block ×3, first 2 shown]
	v_add_f64 v[148:149], v[138:139], v[134:135]
	v_add_f64 v[154:155], v[186:187], v[188:189]
	v_fma_f64 v[96:97], v[144:145], s[16:17], v[118:119]
	v_fma_f64 v[116:117], v[144:145], s[16:17], v[116:117]
	v_fma_f64 v[144:145], v[190:191], -0.5, v[84:85]
	v_fma_f64 v[118:119], v[150:151], s[16:17], v[128:129]
	v_fma_f64 v[128:129], v[182:183], s[22:23], v[152:153]
	v_add_f64 v[152:153], v[86:87], v[138:139]
	v_add_f64 v[84:85], v[176:177], v[132:133]
	v_add_f64 v[146:147], v[140:141], -v[136:137]
	v_add_f64 v[150:151], v[124:125], -v[132:133]
	v_fma_f64 v[122:123], v[122:123], -0.5, v[86:87]
	v_add_f64 v[132:133], v[136:137], -v[132:133]
	v_add_f64 v[124:125], v[140:141], -v[124:125]
	v_fma_f64 v[86:87], v[148:149], -0.5, v[86:87]
	v_fma_f64 v[120:121], v[154:155], s[16:17], v[130:131]
	v_fma_f64 v[130:131], v[184:185], s[22:23], v[144:145]
	;; [unrolled: 1-line block ×3, first 2 shown]
	v_add_f64 v[144:145], v[152:153], v[142:143]
	v_add_f64 v[136:137], v[146:147], v[150:151]
	v_fma_f64 v[146:147], v[132:133], s[22:23], v[122:123]
	v_add_f64 v[148:149], v[138:139], -v[142:143]
	v_add_f64 v[150:151], v[134:135], -v[126:127]
	v_fma_f64 v[152:153], v[124:125], s[18:19], v[86:87]
	v_add_f64 v[138:139], v[142:143], -v[138:139]
	v_add_f64 v[142:143], v[126:127], -v[134:135]
	v_fma_f64 v[122:123], v[132:133], s[18:19], v[122:123]
	v_fma_f64 v[86:87], v[124:125], s[22:23], v[86:87]
	v_add_f64 v[126:127], v[144:145], v[126:127]
	v_fma_f64 v[144:145], v[124:125], s[20:21], v[146:147]
	v_add_f64 v[146:147], v[148:149], v[150:151]
	v_fma_f64 v[128:129], v[184:185], s[20:21], v[128:129]
	v_fma_f64 v[130:131], v[182:183], s[12:13], v[130:131]
	v_fma_f64 v[150:151], v[132:133], s[20:21], v[152:153]
	v_add_f64 v[138:139], v[138:139], v[142:143]
	v_fma_f64 v[140:141], v[182:183], s[20:21], v[140:141]
	v_fma_f64 v[148:149], v[124:125], s[12:13], v[122:123]
	;; [unrolled: 4-line block ×3, first 2 shown]
	v_fma_f64 v[128:129], v[136:137], s[16:17], v[130:131]
	v_fma_f64 v[130:131], v[138:139], s[16:17], v[150:151]
	;; [unrolled: 1-line block ×5, first 2 shown]
	ds_write_b128 v159, v[80:83]
	ds_write_b128 v159, v[88:91] offset:896
	ds_write_b128 v159, v[96:99] offset:1792
	;; [unrolled: 1-line block ×9, first 2 shown]
	v_mul_i32_i24_e32 v81, 0xffffffd0, v160
	v_mul_hi_i32_i24_e32 v80, 0xffffffd0, v160
	v_add_co_u32_e64 v81, s[2:3], v192, v81
	v_addc_co_u32_e64 v80, s[2:3], v193, v80, s[2:3]
	s_movk_i32 s12, 0x1000
	v_add_co_u32_e64 v96, s[2:3], s12, v81
	v_addc_co_u32_e64 v97, s[2:3], 0, v80, s[2:3]
	s_waitcnt lgkmcnt(0)
	; wave barrier
	s_waitcnt lgkmcnt(0)
	global_load_dwordx4 v[80:83], v[96:97], off offset:256
	global_load_dwordx4 v[88:91], v[96:97], off offset:1152
	v_or_b32_e32 v98, 0x1800, v159
	global_load_dwordx4 v[84:87], v98, s[4:5]
	global_load_dwordx4 v[92:95], v[96:97], off offset:2944
                                        ; kill: killed $vgpr98
                                        ; kill: killed $sgpr4 killed $sgpr5
	s_nop 0
	global_load_dwordx4 v[96:99], v[96:97], off offset:3840
	ds_read_b128 v[116:119], v159 offset:4480
	ds_read_b128 v[120:123], v159
	ds_read_b128 v[124:127], v159 offset:896
	ds_read_b128 v[128:131], v159 offset:5376
	;; [unrolled: 1-line block ×8, first 2 shown]
	s_add_u32 s4, s6, 0x2300
	s_addc_u32 s5, s7, 0
	s_waitcnt vmcnt(2) lgkmcnt(5)
	v_mul_f64 v[174:175], v[134:135], v[86:87]
	v_mul_f64 v[166:167], v[118:119], v[82:83]
	;; [unrolled: 1-line block ×6, first 2 shown]
	s_waitcnt vmcnt(0) lgkmcnt(0)
	v_mul_f64 v[178:179], v[154:155], v[98:99]
	v_mul_f64 v[180:181], v[152:153], v[98:99]
	v_fma_f64 v[116:117], v[116:117], v[80:81], -v[166:167]
	v_fma_f64 v[118:119], v[118:119], v[80:81], v[168:169]
	v_mul_f64 v[166:167], v[150:151], v[94:95]
	v_mul_f64 v[168:169], v[148:149], v[94:95]
	v_fma_f64 v[170:171], v[128:129], v[88:89], -v[170:171]
	v_fma_f64 v[172:173], v[130:131], v[88:89], v[172:173]
	v_add_f64 v[128:129], v[120:121], -v[116:117]
	v_add_f64 v[130:131], v[122:123], -v[118:119]
	v_fma_f64 v[116:117], v[132:133], v[84:85], -v[174:175]
	v_fma_f64 v[118:119], v[134:135], v[84:85], v[176:177]
	v_fma_f64 v[166:167], v[148:149], v[92:93], -v[166:167]
	v_fma_f64 v[168:169], v[150:151], v[92:93], v[168:169]
	;; [unrolled: 2-line block ×3, first 2 shown]
	v_add_f64 v[148:149], v[124:125], -v[170:171]
	v_add_f64 v[150:151], v[126:127], -v[172:173]
	;; [unrolled: 1-line block ×6, first 2 shown]
	v_fma_f64 v[132:133], v[120:121], 2.0, -v[128:129]
	v_fma_f64 v[134:135], v[122:123], 2.0, -v[130:131]
	v_add_f64 v[116:117], v[144:145], -v[174:175]
	v_add_f64 v[118:119], v[146:147], -v[176:177]
	v_fma_f64 v[124:125], v[124:125], 2.0, -v[148:149]
	v_fma_f64 v[126:127], v[126:127], 2.0, -v[150:151]
	;; [unrolled: 1-line block ×8, first 2 shown]
	ds_write_b128 v159, v[132:135]
	ds_write_b128 v159, v[128:131] offset:4480
	ds_write_b128 v159, v[124:127] offset:896
	;; [unrolled: 1-line block ×9, first 2 shown]
	s_waitcnt lgkmcnt(0)
	; wave barrier
	s_waitcnt lgkmcnt(0)
	v_mov_b32_e32 v125, s5
	v_add_co_u32_e64 v124, s[2:3], s4, v159
	global_load_dwordx4 v[128:131], v159, s[4:5]
	global_load_dwordx4 v[132:135], v159, s[4:5] offset:1120
	global_load_dwordx4 v[136:139], v159, s[4:5] offset:2240
	;; [unrolled: 1-line block ×3, first 2 shown]
	v_addc_co_u32_e64 v125, s[2:3], 0, v125, s[2:3]
	v_add_co_u32_e64 v126, s[2:3], s12, v124
	v_addc_co_u32_e64 v127, s[2:3], 0, v125, s[2:3]
	global_load_dwordx4 v[144:147], v[126:127], off offset:384
	global_load_dwordx4 v[148:151], v[126:127], off offset:1504
	;; [unrolled: 1-line block ×4, first 2 shown]
	ds_read_b128 v[170:173], v159
	ds_read_b128 v[174:177], v159 offset:1120
	ds_read_b128 v[178:181], v159 offset:2240
	;; [unrolled: 1-line block ×7, first 2 shown]
	s_waitcnt vmcnt(7) lgkmcnt(7)
	v_mul_f64 v[202:203], v[172:173], v[130:131]
	v_mul_f64 v[130:131], v[170:171], v[130:131]
	s_waitcnt vmcnt(6) lgkmcnt(6)
	v_mul_f64 v[204:205], v[176:177], v[134:135]
	v_mul_f64 v[134:135], v[174:175], v[134:135]
	;; [unrolled: 3-line block ×8, first 2 shown]
	v_fma_f64 v[168:169], v[170:171], v[128:129], -v[202:203]
	v_fma_f64 v[170:171], v[172:173], v[128:129], v[130:131]
	v_fma_f64 v[128:129], v[174:175], v[132:133], -v[204:205]
	v_fma_f64 v[130:131], v[176:177], v[132:133], v[134:135]
	;; [unrolled: 2-line block ×8, first 2 shown]
	ds_write_b128 v159, v[168:171]
	ds_write_b128 v159, v[128:131] offset:1120
	ds_write_b128 v159, v[132:135] offset:2240
	ds_write_b128 v159, v[136:139] offset:3360
	ds_write_b128 v159, v[140:143] offset:4480
	ds_write_b128 v159, v[144:147] offset:5600
	ds_write_b128 v159, v[148:151] offset:6720
	ds_write_b128 v159, v[152:155] offset:7840
	s_and_saveexec_b64 s[12:13], vcc
	s_cbranch_execz .LBB0_13
; %bb.12:
	global_load_dwordx4 v[128:131], v[124:125], off offset:896
	global_load_dwordx4 v[132:135], v[124:125], off offset:2016
	;; [unrolled: 1-line block ×4, first 2 shown]
	v_mov_b32_e32 v152, 0x1500
	s_movk_i32 s2, 0x2000
	global_load_dwordx4 v[144:147], v[126:127], off offset:2400
	global_load_dwordx4 v[148:151], v[126:127], off offset:3520
	v_lshl_or_b32 v126, v160, 4, v152
	v_add_co_u32_e64 v124, s[2:3], s2, v124
	global_load_dwordx4 v[152:155], v126, s[4:5]
	v_addc_co_u32_e64 v125, s[2:3], 0, v125, s[2:3]
	global_load_dwordx4 v[124:127], v[124:125], off offset:544
	ds_read_b128 v[166:169], v159 offset:896
	ds_read_b128 v[170:173], v159 offset:2016
	;; [unrolled: 1-line block ×8, first 2 shown]
	s_waitcnt vmcnt(7) lgkmcnt(7)
	v_mul_f64 v[198:199], v[168:169], v[130:131]
	v_mul_f64 v[130:131], v[166:167], v[130:131]
	s_waitcnt vmcnt(6) lgkmcnt(6)
	v_mul_f64 v[200:201], v[172:173], v[134:135]
	v_mul_f64 v[134:135], v[170:171], v[134:135]
	;; [unrolled: 3-line block ×6, first 2 shown]
	s_waitcnt vmcnt(1)
	v_mul_f64 v[210:211], v[184:185], v[154:155]
	v_mul_f64 v[154:155], v[182:183], v[154:155]
	s_waitcnt vmcnt(0) lgkmcnt(0)
	v_mul_f64 v[212:213], v[196:197], v[126:127]
	v_mul_f64 v[214:215], v[194:195], v[126:127]
	v_fma_f64 v[126:127], v[166:167], v[128:129], -v[198:199]
	v_fma_f64 v[128:129], v[168:169], v[128:129], v[130:131]
	v_fma_f64 v[130:131], v[170:171], v[132:133], -v[200:201]
	v_fma_f64 v[132:133], v[172:173], v[132:133], v[134:135]
	;; [unrolled: 2-line block ×8, first 2 shown]
	ds_write_b128 v159, v[126:129] offset:896
	ds_write_b128 v159, v[130:133] offset:2016
	;; [unrolled: 1-line block ×8, first 2 shown]
.LBB0_13:
	s_or_b64 exec, exec, s[12:13]
	s_waitcnt lgkmcnt(0)
	; wave barrier
	s_waitcnt lgkmcnt(0)
	ds_read_b128 v[132:135], v159
	ds_read_b128 v[124:127], v159 offset:1120
	ds_read_b128 v[136:139], v159 offset:2240
	ds_read_b128 v[128:131], v159 offset:3360
	ds_read_b128 v[152:155], v159 offset:4480
	ds_read_b128 v[144:147], v159 offset:5600
	ds_read_b128 v[148:151], v159 offset:6720
	ds_read_b128 v[140:143], v159 offset:7840
	s_and_saveexec_b64 s[2:3], vcc
	s_cbranch_execz .LBB0_15
; %bb.14:
	ds_read_b128 v[120:123], v159 offset:896
	ds_read_b128 v[116:119], v159 offset:2016
	;; [unrolled: 1-line block ×8, first 2 shown]
.LBB0_15:
	s_or_b64 exec, exec, s[2:3]
	s_waitcnt lgkmcnt(3)
	v_add_f64 v[152:153], v[132:133], -v[152:153]
	v_add_f64 v[154:155], v[134:135], -v[154:155]
	s_waitcnt lgkmcnt(1)
	v_add_f64 v[148:149], v[136:137], -v[148:149]
	v_add_f64 v[150:151], v[138:139], -v[150:151]
	;; [unrolled: 1-line block ×4, first 2 shown]
	s_waitcnt lgkmcnt(0)
	v_add_f64 v[140:141], v[128:129], -v[140:141]
	v_add_f64 v[142:143], v[130:131], -v[142:143]
	v_fma_f64 v[132:133], v[132:133], 2.0, -v[152:153]
	v_fma_f64 v[134:135], v[134:135], 2.0, -v[154:155]
	;; [unrolled: 1-line block ×8, first 2 shown]
	v_add_f64 v[166:167], v[152:153], v[150:151]
	v_add_f64 v[168:169], v[154:155], -v[148:149]
	v_add_f64 v[170:171], v[144:145], v[142:143]
	v_add_f64 v[172:173], v[146:147], -v[140:141]
	v_add_f64 v[148:149], v[132:133], -v[136:137]
	;; [unrolled: 1-line block ×13, first 2 shown]
	v_fma_f64 v[140:141], v[144:145], 2.0, -v[170:171]
	v_fma_f64 v[142:143], v[146:147], 2.0, -v[172:173]
	v_fma_f64 v[144:145], v[132:133], 2.0, -v[148:149]
	v_fma_f64 v[146:147], v[134:135], 2.0, -v[150:151]
	v_fma_f64 v[124:125], v[124:125], 2.0, -v[138:139]
	v_fma_f64 v[126:127], v[126:127], 2.0, -v[136:137]
	v_fma_f64 v[120:121], v[120:121], 2.0, -v[108:109]
	v_fma_f64 v[122:123], v[122:123], 2.0, -v[110:111]
	v_fma_f64 v[100:101], v[100:101], 2.0, -v[72:73]
	v_fma_f64 v[102:103], v[102:103], 2.0, -v[74:75]
	v_fma_f64 v[116:117], v[116:117], 2.0, -v[112:113]
	v_fma_f64 v[118:119], v[118:119], 2.0, -v[114:115]
	v_add_f64 v[174:175], v[74:75], v[108:109]
	v_add_f64 v[176:177], v[110:111], -v[72:73]
	v_fma_f64 v[72:73], v[104:105], 2.0, -v[76:77]
	v_fma_f64 v[74:75], v[106:107], 2.0, -v[78:79]
	v_add_f64 v[78:79], v[78:79], v[112:113]
	v_add_f64 v[76:77], v[114:115], -v[76:77]
	s_mov_b32 s2, 0x667f3bcd
	s_mov_b32 s3, 0xbfe6a09e
	;; [unrolled: 1-line block ×4, first 2 shown]
	v_add_f64 v[128:129], v[144:145], -v[124:125]
	v_add_f64 v[130:131], v[146:147], -v[126:127]
	v_fma_f64 v[124:125], v[170:171], s[4:5], v[166:167]
	v_fma_f64 v[126:127], v[172:173], s[4:5], v[168:169]
	v_add_f64 v[104:105], v[120:121], -v[100:101]
	v_add_f64 v[106:107], v[122:123], -v[102:103]
	v_fma_f64 v[100:101], v[108:109], 2.0, -v[174:175]
	v_fma_f64 v[102:103], v[110:111], 2.0, -v[176:177]
	v_add_f64 v[108:109], v[116:117], -v[72:73]
	v_add_f64 v[110:111], v[118:119], -v[74:75]
	v_fma_f64 v[178:179], v[112:113], 2.0, -v[78:79]
	v_fma_f64 v[180:181], v[114:115], 2.0, -v[76:77]
	;; [unrolled: 1-line block ×4, first 2 shown]
	v_fma_f64 v[72:73], v[172:173], s[4:5], v[124:125]
	v_fma_f64 v[74:75], v[170:171], s[2:3], v[126:127]
	v_fma_f64 v[170:171], v[120:121], 2.0, -v[104:105]
	v_fma_f64 v[172:173], v[122:123], 2.0, -v[106:107]
	;; [unrolled: 1-line block ×4, first 2 shown]
	v_fma_f64 v[116:117], v[178:179], s[2:3], v[100:101]
	v_fma_f64 v[118:119], v[180:181], s[2:3], v[102:103]
	;; [unrolled: 1-line block ×6, first 2 shown]
	v_add_f64 v[112:113], v[170:171], -v[112:113]
	v_add_f64 v[114:115], v[172:173], -v[114:115]
	v_fma_f64 v[116:117], v[180:181], s[4:5], v[116:117]
	v_fma_f64 v[118:119], v[178:179], s[2:3], v[118:119]
	v_add_f64 v[124:125], v[104:105], v[110:111]
	v_add_f64 v[126:127], v[106:107], -v[108:109]
	v_fma_f64 v[120:121], v[76:77], s[4:5], v[120:121]
	v_fma_f64 v[122:123], v[78:79], s[2:3], v[122:123]
	;; [unrolled: 1-line block ×4, first 2 shown]
	v_add_f64 v[136:137], v[148:149], v[136:137]
	v_add_f64 v[138:139], v[150:151], -v[138:139]
	v_fma_f64 v[140:141], v[144:145], 2.0, -v[128:129]
	v_fma_f64 v[142:143], v[146:147], 2.0, -v[130:131]
	;; [unrolled: 1-line block ×16, first 2 shown]
	s_waitcnt lgkmcnt(0)
	; wave barrier
	ds_write_b128 v163, v[140:143]
	ds_write_b128 v163, v[144:147] offset:16
	ds_write_b128 v163, v[148:151] offset:32
	;; [unrolled: 1-line block ×7, first 2 shown]
	s_and_saveexec_b64 s[2:3], vcc
	s_cbranch_execz .LBB0_17
; %bb.16:
	ds_write_b128 v162, v[76:79]
	ds_write_b128 v162, v[100:103] offset:16
	ds_write_b128 v162, v[104:107] offset:32
	;; [unrolled: 1-line block ×7, first 2 shown]
.LBB0_17:
	s_or_b64 exec, exec, s[2:3]
	s_waitcnt lgkmcnt(0)
	; wave barrier
	s_waitcnt lgkmcnt(0)
	ds_read_b128 v[120:123], v159
	ds_read_b128 v[144:147], v159 offset:1280
	ds_read_b128 v[140:143], v159 offset:2560
	;; [unrolled: 1-line block ×6, first 2 shown]
	s_and_saveexec_b64 s[2:3], s[0:1]
	s_cbranch_execz .LBB0_19
; %bb.18:
	ds_read_b128 v[72:75], v159 offset:896
	ds_read_b128 v[76:79], v159 offset:2176
	;; [unrolled: 1-line block ×7, first 2 shown]
.LBB0_19:
	s_or_b64 exec, exec, s[2:3]
	s_waitcnt lgkmcnt(5)
	v_mul_f64 v[148:149], v[42:43], v[146:147]
	s_waitcnt lgkmcnt(4)
	v_mul_f64 v[154:155], v[46:47], v[140:141]
	v_mul_f64 v[150:151], v[42:43], v[144:145]
	;; [unrolled: 1-line block ×3, first 2 shown]
	s_waitcnt lgkmcnt(0)
	v_mul_f64 v[162:163], v[50:51], v[138:139]
	v_mul_f64 v[166:167], v[54:55], v[132:133]
	;; [unrolled: 1-line block ×4, first 2 shown]
	v_fma_f64 v[144:145], v[40:41], v[144:145], v[148:149]
	v_fma_f64 v[142:143], v[44:45], v[142:143], -v[154:155]
	v_mul_f64 v[148:149], v[50:51], v[136:137]
	v_mul_f64 v[154:155], v[54:55], v[134:135]
	v_fma_f64 v[146:147], v[40:41], v[146:147], -v[150:151]
	v_fma_f64 v[140:141], v[44:45], v[140:141], v[152:153]
	v_mul_f64 v[150:151], v[38:39], v[130:131]
	v_mul_f64 v[152:153], v[38:39], v[128:129]
	v_fma_f64 v[136:137], v[48:49], v[136:137], v[162:163]
	v_fma_f64 v[134:135], v[52:53], v[134:135], -v[166:167]
	v_fma_f64 v[138:139], v[48:49], v[138:139], -v[148:149]
	v_fma_f64 v[132:133], v[52:53], v[132:133], v[154:155]
	v_fma_f64 v[124:125], v[32:33], v[124:125], v[168:169]
	v_fma_f64 v[126:127], v[32:33], v[126:127], -v[170:171]
	v_fma_f64 v[128:129], v[36:37], v[128:129], v[150:151]
	v_fma_f64 v[130:131], v[36:37], v[130:131], -v[152:153]
	v_add_f64 v[148:149], v[144:145], v[136:137]
	v_add_f64 v[136:137], v[144:145], -v[136:137]
	v_add_f64 v[150:151], v[146:147], v[138:139]
	v_add_f64 v[138:139], v[146:147], -v[138:139]
	v_add_f64 v[144:145], v[140:141], v[132:133]
	v_add_f64 v[146:147], v[142:143], v[134:135]
	v_add_f64 v[132:133], v[140:141], -v[132:133]
	v_add_f64 v[134:135], v[142:143], -v[134:135]
	v_add_f64 v[140:141], v[128:129], v[124:125]
	v_add_f64 v[142:143], v[130:131], v[126:127]
	v_add_f64 v[124:125], v[124:125], -v[128:129]
	;; [unrolled: 4-line block ×3, first 2 shown]
	v_add_f64 v[154:155], v[146:147], -v[150:151]
	v_add_f64 v[148:149], v[148:149], -v[140:141]
	;; [unrolled: 1-line block ×5, first 2 shown]
	v_add_f64 v[162:163], v[124:125], v[132:133]
	v_add_f64 v[166:167], v[126:127], v[134:135]
	v_add_f64 v[168:169], v[124:125], -v[132:133]
	v_add_f64 v[170:171], v[126:127], -v[134:135]
	v_add_f64 v[128:129], v[140:141], v[128:129]
	v_add_f64 v[130:131], v[142:143], v[130:131]
	v_add_f64 v[132:133], v[132:133], -v[136:137]
	v_add_f64 v[134:135], v[134:135], -v[138:139]
	s_mov_b32 s4, 0x37e14327
	s_mov_b32 s22, 0x36b3c0b5
	;; [unrolled: 1-line block ×7, first 2 shown]
	v_add_f64 v[124:125], v[136:137], -v[124:125]
	v_add_f64 v[126:127], v[138:139], -v[126:127]
	v_add_f64 v[136:137], v[162:163], v[136:137]
	v_add_f64 v[138:139], v[166:167], v[138:139]
	;; [unrolled: 1-line block ×4, first 2 shown]
	v_mul_f64 v[140:141], v[148:149], s[4:5]
	v_mul_f64 v[142:143], v[150:151], s[4:5]
	;; [unrolled: 1-line block ×6, first 2 shown]
	s_mov_b32 s3, 0xbfebfeb5
	v_mul_f64 v[168:169], v[132:133], s[2:3]
	v_mul_f64 v[170:171], v[134:135], s[2:3]
	s_mov_b32 s26, 0xaaaaaaaa
	s_mov_b32 s12, 0x5476071b
	;; [unrolled: 1-line block ×8, first 2 shown]
	v_fma_f64 v[128:129], v[128:129], s[26:27], v[120:121]
	v_fma_f64 v[130:131], v[130:131], s[26:27], v[122:123]
	;; [unrolled: 1-line block ×4, first 2 shown]
	v_fma_f64 v[148:149], v[152:153], s[12:13], -v[148:149]
	v_fma_f64 v[150:151], v[154:155], s[12:13], -v[150:151]
	;; [unrolled: 1-line block ×4, first 2 shown]
	v_fma_f64 v[152:153], v[124:125], s[24:25], v[162:163]
	v_fma_f64 v[154:155], v[126:127], s[24:25], v[166:167]
	s_mov_b32 s29, 0x3fd5d0dc
	s_mov_b32 s28, s24
	v_fma_f64 v[124:125], v[124:125], s[28:29], -v[168:169]
	v_fma_f64 v[126:127], v[126:127], s[28:29], -v[170:171]
	v_fma_f64 v[132:133], v[132:133], s[2:3], -v[162:163]
	v_fma_f64 v[134:135], v[134:135], s[2:3], -v[166:167]
	s_mov_b32 s18, 0x37c3f68c
	s_mov_b32 s19, 0xbfdc38aa
	v_add_f64 v[144:145], v[144:145], v[128:129]
	v_add_f64 v[146:147], v[146:147], v[130:131]
	v_fma_f64 v[154:155], v[138:139], s[18:19], v[154:155]
	v_fma_f64 v[152:153], v[136:137], s[18:19], v[152:153]
	v_add_f64 v[140:141], v[140:141], v[128:129]
	v_add_f64 v[142:143], v[142:143], v[130:131]
	v_fma_f64 v[162:163], v[138:139], s[18:19], v[126:127]
	v_fma_f64 v[166:167], v[136:137], s[18:19], v[124:125]
	;; [unrolled: 4-line block ×3, first 2 shown]
	v_add_f64 v[124:125], v[154:155], v[144:145]
	v_add_f64 v[126:127], v[146:147], -v[152:153]
	v_add_f64 v[128:129], v[162:163], v[140:141]
	v_add_f64 v[130:131], v[142:143], -v[166:167]
	v_add_f64 v[140:141], v[140:141], -v[162:163]
	v_add_f64 v[142:143], v[166:167], v[142:143]
	v_add_f64 v[132:133], v[148:149], -v[138:139]
	v_add_f64 v[134:135], v[168:169], v[150:151]
	v_add_f64 v[136:137], v[138:139], v[148:149]
	v_add_f64 v[138:139], v[150:151], -v[168:169]
	v_add_f64 v[144:145], v[144:145], -v[154:155]
	v_add_f64 v[146:147], v[152:153], v[146:147]
	s_waitcnt lgkmcnt(0)
	; wave barrier
	ds_write_b128 v165, v[120:123]
	ds_write_b128 v165, v[124:127] offset:128
	ds_write_b128 v165, v[128:131] offset:256
	;; [unrolled: 1-line block ×6, first 2 shown]
	s_and_saveexec_b64 s[30:31], s[0:1]
	s_cbranch_execz .LBB0_21
; %bb.20:
	v_mul_f64 v[120:121], v[42:43], v[78:79]
	v_mul_f64 v[122:123], v[50:51], v[118:119]
	;; [unrolled: 1-line block ×10, first 2 shown]
	v_fma_f64 v[100:101], v[44:45], v[100:101], v[128:129]
	v_fma_f64 v[112:113], v[52:53], v[112:113], v[130:131]
	v_fma_f64 v[50:51], v[48:49], v[118:119], -v[50:51]
	v_fma_f64 v[42:43], v[40:41], v[78:79], -v[42:43]
	;; [unrolled: 1-line block ×4, first 2 shown]
	v_mul_f64 v[38:39], v[38:39], v[104:105]
	v_mul_f64 v[34:35], v[34:35], v[108:109]
	v_fma_f64 v[124:125], v[32:33], v[108:109], v[124:125]
	v_fma_f64 v[126:127], v[36:37], v[104:105], v[126:127]
	;; [unrolled: 1-line block ×4, first 2 shown]
	v_add_f64 v[76:77], v[42:43], v[50:51]
	v_add_f64 v[78:79], v[52:53], v[44:45]
	v_fma_f64 v[36:37], v[36:37], v[106:107], -v[38:39]
	v_fma_f64 v[32:33], v[32:33], v[110:111], -v[34:35]
	v_add_f64 v[54:55], v[100:101], -v[112:113]
	v_add_f64 v[48:49], v[124:125], -v[126:127]
	v_add_f64 v[110:111], v[126:127], v[124:125]
	v_add_f64 v[38:39], v[40:41], -v[46:47]
	v_add_f64 v[40:41], v[40:41], v[46:47]
	v_add_f64 v[102:103], v[76:77], v[78:79]
	;; [unrolled: 1-line block ×4, first 2 shown]
	v_add_f64 v[44:45], v[44:45], -v[52:53]
	v_add_f64 v[34:35], v[48:49], -v[54:55]
	;; [unrolled: 1-line block ×4, first 2 shown]
	v_add_f64 v[48:49], v[48:49], v[54:55]
	v_add_f64 v[36:37], v[32:33], -v[36:37]
	v_add_f64 v[108:109], v[40:41], v[46:47]
	v_add_f64 v[102:103], v[104:105], v[102:103]
	v_add_f64 v[112:113], v[104:105], -v[78:79]
	v_mul_f64 v[106:107], v[34:35], s[16:17]
	v_add_f64 v[104:105], v[76:77], -v[104:105]
	v_add_f64 v[76:77], v[78:79], -v[76:77]
	v_add_f64 v[48:49], v[38:39], v[48:49]
	v_add_f64 v[38:39], v[54:55], -v[38:39]
	v_add_f64 v[34:35], v[74:75], v[102:103]
	v_add_f64 v[74:75], v[110:111], v[108:109]
	v_mul_f64 v[52:53], v[112:113], s[22:23]
	v_add_f64 v[112:113], v[44:45], -v[42:43]
	v_add_f64 v[108:109], v[110:111], -v[46:47]
	;; [unrolled: 1-line block ×4, first 2 shown]
	v_mul_f64 v[50:51], v[104:105], s[4:5]
	v_mul_f64 v[116:117], v[38:39], s[2:3]
	v_add_f64 v[32:33], v[72:73], v[74:75]
	v_add_f64 v[72:73], v[36:37], -v[44:45]
	v_mul_f64 v[46:47], v[112:113], s[2:3]
	v_mul_f64 v[108:109], v[108:109], s[22:23]
	v_fma_f64 v[114:115], v[100:101], s[24:25], v[106:107]
	v_fma_f64 v[102:103], v[102:103], s[26:27], v[34:35]
	;; [unrolled: 1-line block ×3, first 2 shown]
	v_fma_f64 v[38:39], v[38:39], s[2:3], -v[106:107]
	v_fma_f64 v[54:55], v[74:75], s[26:27], v[32:33]
	v_add_f64 v[74:75], v[42:43], -v[36:37]
	v_add_f64 v[36:37], v[36:37], v[44:45]
	v_mul_f64 v[72:73], v[72:73], s[16:17]
	v_mul_f64 v[44:45], v[110:111], s[4:5]
	v_fma_f64 v[110:111], v[110:111], s[4:5], v[108:109]
	v_fma_f64 v[114:115], v[48:49], s[18:19], v[114:115]
	v_add_f64 v[104:105], v[104:105], v[102:103]
	v_fma_f64 v[46:47], v[74:75], s[28:29], -v[46:47]
	v_add_f64 v[118:119], v[42:43], v[36:37]
	v_fma_f64 v[78:79], v[74:75], s[24:25], v[72:73]
	v_fma_f64 v[36:37], v[100:101], s[28:29], -v[116:117]
	v_fma_f64 v[42:43], v[76:77], s[20:21], -v[50:51]
	;; [unrolled: 1-line block ×5, first 2 shown]
	v_add_f64 v[100:101], v[110:111], v[54:55]
	v_fma_f64 v[76:77], v[118:119], s[18:19], v[46:47]
	v_fma_f64 v[46:47], v[112:113], s[2:3], -v[72:73]
	v_fma_f64 v[78:79], v[118:119], s[18:19], v[78:79]
	v_fma_f64 v[52:53], v[48:49], s[18:19], v[36:37]
	v_add_f64 v[74:75], v[42:43], v[102:103]
	v_add_f64 v[44:45], v[44:45], v[54:55]
	;; [unrolled: 1-line block ×3, first 2 shown]
	v_fma_f64 v[48:49], v[48:49], s[18:19], v[38:39]
	v_add_f64 v[102:103], v[40:41], v[54:55]
	v_fma_f64 v[106:107], v[118:119], s[18:19], v[46:47]
	v_add_f64 v[72:73], v[78:79], v[100:101]
	v_add_f64 v[38:39], v[114:115], v[104:105]
	;; [unrolled: 1-line block ×3, first 2 shown]
	v_add_f64 v[54:55], v[74:75], -v[52:53]
	v_add_f64 v[74:75], v[104:105], -v[114:115]
	v_add_f64 v[52:53], v[76:77], v[44:45]
	v_add_f64 v[46:47], v[50:51], -v[48:49]
	v_add_f64 v[50:51], v[48:49], v[50:51]
	v_add_f64 v[48:49], v[102:103], -v[106:107]
	v_add_f64 v[40:41], v[44:45], -v[76:77]
	v_add_f64 v[44:45], v[106:107], v[102:103]
	v_mul_u32_u24_e32 v76, 56, v164
	v_add_f64 v[36:37], v[100:101], -v[78:79]
	v_or_b32_e32 v76, v76, v161
	v_lshlrev_b32_e32 v76, 4, v76
	ds_write_b128 v76, v[32:35]
	ds_write_b128 v76, v[72:75] offset:128
	ds_write_b128 v76, v[52:55] offset:256
	;; [unrolled: 1-line block ×6, first 2 shown]
.LBB0_21:
	s_or_b64 exec, exec, s[30:31]
	s_waitcnt lgkmcnt(0)
	; wave barrier
	s_waitcnt lgkmcnt(0)
	ds_read_b128 v[32:35], v159
	ds_read_b128 v[36:39], v159 offset:896
	ds_read_b128 v[40:43], v159 offset:1792
	;; [unrolled: 1-line block ×7, first 2 shown]
	s_waitcnt lgkmcnt(5)
	v_mul_f64 v[108:109], v[70:71], v[42:43]
	v_mul_f64 v[110:111], v[70:71], v[40:41]
	s_waitcnt lgkmcnt(3)
	v_mul_f64 v[112:113], v[66:67], v[50:51]
	s_waitcnt lgkmcnt(1)
	v_mul_f64 v[116:117], v[62:63], v[74:75]
	v_mul_f64 v[118:119], v[62:63], v[72:73]
	ds_read_b128 v[100:103], v159 offset:7168
	ds_read_b128 v[104:107], v159 offset:8064
	v_mul_f64 v[114:115], v[66:67], v[48:49]
	s_mov_b32 s0, 0x134454ff
	v_fma_f64 v[108:109], v[68:69], v[40:41], v[108:109]
	s_waitcnt lgkmcnt(1)
	v_mul_f64 v[40:41], v[58:59], v[102:103]
	v_mul_f64 v[120:121], v[58:59], v[100:101]
	v_fma_f64 v[110:111], v[68:69], v[42:43], -v[110:111]
	v_fma_f64 v[42:43], v[64:65], v[48:49], v[112:113]
	v_fma_f64 v[48:49], v[60:61], v[72:73], v[116:117]
	v_fma_f64 v[72:73], v[60:61], v[74:75], -v[118:119]
	v_mul_f64 v[74:75], v[70:71], v[46:47]
	v_fma_f64 v[50:51], v[64:65], v[50:51], -v[114:115]
	v_fma_f64 v[100:101], v[56:57], v[100:101], v[40:41]
	v_fma_f64 v[102:103], v[56:57], v[102:103], -v[120:121]
	v_mul_f64 v[40:41], v[70:71], v[44:45]
	v_mul_f64 v[70:71], v[66:67], v[54:55]
	v_add_f64 v[112:113], v[32:33], v[108:109]
	v_add_f64 v[114:115], v[42:43], v[48:49]
	v_mul_f64 v[66:67], v[66:67], v[52:53]
	v_fma_f64 v[74:75], v[68:69], v[44:45], v[74:75]
	v_mul_f64 v[44:45], v[62:63], v[78:79]
	v_mul_f64 v[62:63], v[62:63], v[76:77]
	v_fma_f64 v[68:69], v[68:69], v[46:47], -v[40:41]
	v_fma_f64 v[70:71], v[64:65], v[52:53], v[70:71]
	v_add_f64 v[40:41], v[112:113], v[42:43]
	v_fma_f64 v[46:47], v[114:115], -0.5, v[32:33]
	v_add_f64 v[52:53], v[110:111], -v[102:103]
	v_add_f64 v[112:113], v[108:109], v[100:101]
	v_fma_f64 v[64:65], v[64:65], v[54:55], -v[66:67]
	v_fma_f64 v[66:67], v[60:61], v[76:77], v[44:45]
	s_waitcnt lgkmcnt(0)
	v_mul_f64 v[44:45], v[58:59], v[106:107]
	v_mul_f64 v[54:55], v[58:59], v[104:105]
	s_mov_b32 s1, 0xbfee6f0e
	v_fma_f64 v[60:61], v[60:61], v[78:79], -v[62:63]
	v_fma_f64 v[58:59], v[52:53], s[0:1], v[46:47]
	v_add_f64 v[62:63], v[50:51], -v[72:73]
	v_add_f64 v[76:77], v[108:109], -v[42:43]
	;; [unrolled: 1-line block ×3, first 2 shown]
	v_fma_f64 v[32:33], v[112:113], -0.5, v[32:33]
	s_mov_b32 s17, 0x3fee6f0e
	s_mov_b32 s16, s0
	v_fma_f64 v[104:105], v[56:57], v[104:105], v[44:45]
	v_fma_f64 v[106:107], v[56:57], v[106:107], -v[54:55]
	v_fma_f64 v[46:47], v[52:53], s[16:17], v[46:47]
	v_add_f64 v[56:57], v[34:35], v[110:111]
	s_mov_b32 s4, 0x4755a5e
	s_mov_b32 s5, 0xbfe2cf23
	v_add_f64 v[40:41], v[40:41], v[48:49]
	v_fma_f64 v[44:45], v[62:63], s[4:5], v[58:59]
	v_add_f64 v[54:55], v[76:77], v[78:79]
	v_add_f64 v[58:59], v[50:51], v[72:73]
	v_fma_f64 v[76:77], v[62:63], s[16:17], v[32:33]
	v_add_f64 v[78:79], v[42:43], -v[108:109]
	v_add_f64 v[112:113], v[48:49], -v[100:101]
	s_mov_b32 s13, 0x3fe2cf23
	s_mov_b32 s12, s4
	v_fma_f64 v[46:47], v[62:63], s[12:13], v[46:47]
	v_add_f64 v[56:57], v[56:57], v[50:51]
	v_add_f64 v[40:41], v[40:41], v[100:101]
	s_mov_b32 s2, 0x372fe950
	v_fma_f64 v[62:63], v[62:63], s[0:1], v[32:33]
	v_fma_f64 v[58:59], v[58:59], -0.5, v[34:35]
	v_add_f64 v[100:101], v[108:109], -v[100:101]
	v_fma_f64 v[76:77], v[52:53], s[4:5], v[76:77]
	v_add_f64 v[78:79], v[78:79], v[112:113]
	s_mov_b32 s3, 0x3fd3c6ef
	v_fma_f64 v[32:33], v[54:55], s[2:3], v[44:45]
	v_fma_f64 v[44:45], v[54:55], s[2:3], v[46:47]
	v_add_f64 v[54:55], v[56:57], v[72:73]
	v_add_f64 v[56:57], v[110:111], v[102:103]
	v_fma_f64 v[46:47], v[52:53], s[12:13], v[62:63]
	v_fma_f64 v[62:63], v[100:101], s[16:17], v[58:59]
	v_add_f64 v[108:109], v[42:43], -v[48:49]
	v_fma_f64 v[48:49], v[78:79], s[2:3], v[76:77]
	v_add_f64 v[76:77], v[70:71], v[66:67]
	v_add_f64 v[112:113], v[110:111], -v[50:51]
	v_add_f64 v[114:115], v[102:103], -v[72:73]
	v_fma_f64 v[34:35], v[56:57], -0.5, v[34:35]
	v_fma_f64 v[52:53], v[78:79], s[2:3], v[46:47]
	v_fma_f64 v[58:59], v[100:101], s[0:1], v[58:59]
	;; [unrolled: 1-line block ×3, first 2 shown]
	v_add_f64 v[42:43], v[54:55], v[102:103]
	v_fma_f64 v[62:63], v[76:77], -0.5, v[36:37]
	v_add_f64 v[76:77], v[68:69], -v[106:107]
	v_add_f64 v[54:55], v[36:37], v[74:75]
	v_fma_f64 v[78:79], v[108:109], s[0:1], v[34:35]
	v_add_f64 v[50:51], v[50:51], -v[110:111]
	v_add_f64 v[72:73], v[72:73], -v[102:103]
	v_fma_f64 v[34:35], v[108:109], s[16:17], v[34:35]
	v_add_f64 v[56:57], v[112:113], v[114:115]
	v_add_f64 v[110:111], v[64:65], -v[60:61]
	v_fma_f64 v[102:103], v[76:77], s[0:1], v[62:63]
	v_add_f64 v[112:113], v[74:75], -v[70:71]
	v_add_f64 v[114:115], v[104:105], -v[66:67]
	v_fma_f64 v[58:59], v[108:109], s[4:5], v[58:59]
	v_add_f64 v[54:55], v[54:55], v[70:71]
	v_fma_f64 v[78:79], v[100:101], s[12:13], v[78:79]
	v_add_f64 v[72:73], v[50:51], v[72:73]
	;; [unrolled: 2-line block ×4, first 2 shown]
	v_fma_f64 v[34:35], v[56:57], s[2:3], v[46:47]
	v_fma_f64 v[46:47], v[56:57], s[2:3], v[58:59]
	v_add_f64 v[58:59], v[64:65], v[60:61]
	v_add_f64 v[116:117], v[54:55], v[66:67]
	v_fma_f64 v[54:55], v[72:73], s[2:3], v[100:101]
	v_add_f64 v[100:101], v[68:69], v[106:107]
	v_fma_f64 v[108:109], v[108:109], -0.5, v[36:37]
	v_fma_f64 v[50:51], v[72:73], s[2:3], v[78:79]
	v_fma_f64 v[56:57], v[112:113], s[2:3], v[102:103]
	v_add_f64 v[78:79], v[70:71], -v[74:75]
	v_add_f64 v[102:103], v[66:67], -v[104:105]
	v_add_f64 v[114:115], v[38:39], v[68:69]
	v_fma_f64 v[58:59], v[58:59], -0.5, v[38:39]
	v_add_f64 v[74:75], v[74:75], -v[104:105]
	v_fma_f64 v[62:63], v[76:77], s[16:17], v[62:63]
	v_add_f64 v[66:67], v[70:71], -v[66:67]
	v_fma_f64 v[38:39], v[100:101], -0.5, v[38:39]
	v_fma_f64 v[72:73], v[110:111], s[16:17], v[108:109]
	v_add_f64 v[70:71], v[78:79], v[102:103]
	v_fma_f64 v[78:79], v[110:111], s[0:1], v[108:109]
	v_add_f64 v[100:101], v[114:115], v[64:65]
	v_add_f64 v[36:37], v[116:117], v[104:105]
	v_fma_f64 v[102:103], v[74:75], s[16:17], v[58:59]
	v_add_f64 v[104:105], v[68:69], -v[64:65]
	v_add_f64 v[108:109], v[106:107], -v[60:61]
	v_fma_f64 v[62:63], v[110:111], s[12:13], v[62:63]
	v_fma_f64 v[58:59], v[74:75], s[0:1], v[58:59]
	;; [unrolled: 1-line block ×3, first 2 shown]
	v_add_f64 v[64:65], v[64:65], -v[68:69]
	v_add_f64 v[68:69], v[60:61], -v[106:107]
	v_fma_f64 v[38:39], v[66:67], s[16:17], v[38:39]
	v_fma_f64 v[72:73], v[76:77], s[4:5], v[72:73]
	;; [unrolled: 1-line block ×3, first 2 shown]
	v_add_f64 v[78:79], v[100:101], v[60:61]
	v_fma_f64 v[100:101], v[66:67], s[12:13], v[102:103]
	v_add_f64 v[102:103], v[104:105], v[108:109]
	v_fma_f64 v[66:67], v[66:67], s[4:5], v[58:59]
	v_fma_f64 v[104:105], v[74:75], s[12:13], v[110:111]
	v_add_f64 v[108:109], v[64:65], v[68:69]
	v_fma_f64 v[74:75], v[74:75], s[4:5], v[38:39]
	;; [unrolled: 3-line block ×3, first 2 shown]
	v_fma_f64 v[58:59], v[102:103], s[2:3], v[100:101]
	v_fma_f64 v[62:63], v[102:103], s[2:3], v[66:67]
	;; [unrolled: 1-line block ×5, first 2 shown]
	s_waitcnt lgkmcnt(0)
	; wave barrier
	ds_write_b128 v159, v[40:43]
	ds_write_b128 v159, v[32:35] offset:896
	ds_write_b128 v159, v[48:51] offset:1792
	;; [unrolled: 1-line block ×9, first 2 shown]
	s_waitcnt lgkmcnt(0)
	; wave barrier
	s_waitcnt lgkmcnt(0)
	ds_read_b128 v[32:35], v159 offset:4480
	ds_read_b128 v[36:39], v159
	ds_read_b128 v[40:43], v159 offset:896
	ds_read_b128 v[44:47], v159 offset:5376
	;; [unrolled: 1-line block ×4, first 2 shown]
	s_waitcnt lgkmcnt(5)
	v_mul_f64 v[72:73], v[82:83], v[34:35]
	v_mul_f64 v[74:75], v[82:83], v[32:33]
	s_waitcnt lgkmcnt(2)
	v_mul_f64 v[76:77], v[90:91], v[46:47]
	v_mul_f64 v[78:79], v[90:91], v[44:45]
	ds_read_b128 v[56:59], v159 offset:1792
	ds_read_b128 v[60:63], v159 offset:2688
	;; [unrolled: 1-line block ×4, first 2 shown]
	s_mov_b32 s2, 0x1d41d41d
	s_mov_b32 s3, 0x3f5d41d4
	v_fma_f64 v[32:33], v[80:81], v[32:33], v[72:73]
	v_fma_f64 v[34:35], v[80:81], v[34:35], -v[74:75]
	s_waitcnt lgkmcnt(5)
	v_mul_f64 v[72:73], v[86:87], v[50:51]
	v_mul_f64 v[74:75], v[86:87], v[48:49]
	v_fma_f64 v[44:45], v[88:89], v[44:45], v[76:77]
	v_fma_f64 v[46:47], v[88:89], v[46:47], -v[78:79]
	s_waitcnt lgkmcnt(1)
	v_mul_f64 v[76:77], v[94:95], v[66:67]
	v_mul_f64 v[78:79], v[94:95], v[64:65]
	s_waitcnt lgkmcnt(0)
	v_mul_f64 v[80:81], v[98:99], v[70:71]
	v_mul_f64 v[82:83], v[98:99], v[68:69]
	v_fma_f64 v[48:49], v[84:85], v[48:49], v[72:73]
	v_fma_f64 v[50:51], v[84:85], v[50:51], -v[74:75]
	v_add_f64 v[32:33], v[36:37], -v[32:33]
	v_add_f64 v[34:35], v[38:39], -v[34:35]
	v_fma_f64 v[64:65], v[92:93], v[64:65], v[76:77]
	v_fma_f64 v[66:67], v[92:93], v[66:67], -v[78:79]
	v_fma_f64 v[68:69], v[96:97], v[68:69], v[80:81]
	v_fma_f64 v[70:71], v[96:97], v[70:71], -v[82:83]
	v_add_f64 v[44:45], v[40:41], -v[44:45]
	v_add_f64 v[46:47], v[42:43], -v[46:47]
	;; [unrolled: 1-line block ×6, first 2 shown]
	v_fma_f64 v[36:37], v[36:37], 2.0, -v[32:33]
	v_fma_f64 v[38:39], v[38:39], 2.0, -v[34:35]
	v_add_f64 v[68:69], v[52:53], -v[68:69]
	v_add_f64 v[70:71], v[54:55], -v[70:71]
	v_fma_f64 v[40:41], v[40:41], 2.0, -v[44:45]
	v_fma_f64 v[42:43], v[42:43], 2.0, -v[46:47]
	;; [unrolled: 1-line block ×8, first 2 shown]
	ds_write_b128 v159, v[36:39]
	ds_write_b128 v159, v[32:35] offset:4480
	ds_write_b128 v159, v[40:43] offset:896
	;; [unrolled: 1-line block ×9, first 2 shown]
	s_waitcnt lgkmcnt(0)
	; wave barrier
	s_waitcnt lgkmcnt(0)
	ds_read_b128 v[32:35], v159
	ds_read_b128 v[36:39], v159 offset:1120
	v_mad_u64_u32 v[40:41], s[0:1], s10, v158, 0
	s_waitcnt lgkmcnt(1)
	v_mul_f64 v[42:43], v[30:31], v[34:35]
	v_mul_f64 v[30:31], v[30:31], v[32:33]
	v_mad_u64_u32 v[44:45], s[0:1], s11, v158, v[41:42]
	v_mad_u64_u32 v[45:46], s[0:1], s8, v160, 0
	v_fma_f64 v[32:33], v[28:29], v[32:33], v[42:43]
	v_fma_f64 v[30:31], v[28:29], v[34:35], -v[30:31]
	v_mov_b32_e32 v28, v46
	v_mad_u64_u32 v[34:35], s[0:1], s9, v160, v[28:29]
	v_mov_b32_e32 v41, v44
	v_mov_b32_e32 v46, v34
	v_mul_f64 v[28:29], v[32:33], s[2:3]
	v_lshlrev_b64 v[32:33], 4, v[40:41]
	s_waitcnt lgkmcnt(0)
	v_mul_f64 v[34:35], v[18:19], v[38:39]
	v_mul_f64 v[40:41], v[18:19], v[36:37]
	v_mov_b32_e32 v19, s15
	v_add_co_u32_e64 v18, s[0:1], s14, v32
	v_mul_f64 v[30:31], v[30:31], s[2:3]
	v_addc_co_u32_e64 v19, s[0:1], v19, v33, s[0:1]
	v_lshlrev_b64 v[32:33], 4, v[45:46]
	v_fma_f64 v[36:37], v[16:17], v[36:37], v[34:35]
	v_fma_f64 v[16:17], v[16:17], v[38:39], -v[40:41]
	v_add_co_u32_e64 v40, s[0:1], v18, v32
	v_addc_co_u32_e64 v41, s[0:1], v19, v33, s[0:1]
	ds_read_b128 v[32:35], v159 offset:2240
	global_store_dwordx4 v[40:41], v[28:31], off
	s_mul_i32 s0, s9, 0x46
	v_mul_f64 v[28:29], v[36:37], s[2:3]
	ds_read_b128 v[36:39], v159 offset:3360
	v_mul_f64 v[30:31], v[16:17], s[2:3]
	s_waitcnt lgkmcnt(1)
	v_mul_f64 v[16:17], v[22:23], v[34:35]
	v_mul_f64 v[22:23], v[22:23], v[32:33]
	s_mul_hi_u32 s1, s8, 0x46
	s_add_i32 s1, s1, s0
	s_mul_i32 s0, s8, 0x46
	s_lshl_b64 s[4:5], s[0:1], 4
	v_mov_b32_e32 v42, s5
	v_fma_f64 v[16:17], v[20:21], v[32:33], v[16:17]
	v_fma_f64 v[22:23], v[20:21], v[34:35], -v[22:23]
	s_waitcnt lgkmcnt(0)
	v_mul_f64 v[32:33], v[6:7], v[38:39]
	v_mul_f64 v[6:7], v[6:7], v[36:37]
	v_add_co_u32_e64 v34, s[0:1], s4, v40
	v_addc_co_u32_e64 v35, s[0:1], v41, v42, s[0:1]
	global_store_dwordx4 v[34:35], v[28:31], off
	ds_read_b128 v[28:31], v159 offset:4480
	v_mul_f64 v[20:21], v[16:17], s[2:3]
	v_mul_f64 v[22:23], v[22:23], s[2:3]
	v_fma_f64 v[16:17], v[4:5], v[36:37], v[32:33]
	v_fma_f64 v[32:33], v[4:5], v[38:39], -v[6:7]
	ds_read_b128 v[4:7], v159 offset:5600
	s_waitcnt lgkmcnt(1)
	v_mul_f64 v[36:37], v[26:27], v[30:31]
	v_mul_f64 v[26:27], v[26:27], v[28:29]
	v_add_co_u32_e64 v34, s[0:1], s4, v34
	v_addc_co_u32_e64 v35, s[0:1], v35, v42, s[0:1]
	global_store_dwordx4 v[34:35], v[20:23], off
	v_add_co_u32_e64 v34, s[0:1], s4, v34
	v_mul_f64 v[20:21], v[16:17], s[2:3]
	v_mul_f64 v[22:23], v[32:33], s[2:3]
	v_fma_f64 v[16:17], v[24:25], v[28:29], v[36:37]
	v_fma_f64 v[28:29], v[24:25], v[30:31], -v[26:27]
	s_waitcnt lgkmcnt(0)
	v_mul_f64 v[32:33], v[2:3], v[6:7]
	v_mul_f64 v[2:3], v[2:3], v[4:5]
	ds_read_b128 v[24:27], v159 offset:6720
	v_addc_co_u32_e64 v35, s[0:1], v35, v42, s[0:1]
	global_store_dwordx4 v[34:35], v[20:23], off
	v_fma_f64 v[4:5], v[0:1], v[4:5], v[32:33]
	v_mul_f64 v[22:23], v[28:29], s[2:3]
	ds_read_b128 v[28:31], v159 offset:7840
	v_fma_f64 v[2:3], v[0:1], v[6:7], -v[2:3]
	s_waitcnt lgkmcnt(1)
	v_mul_f64 v[6:7], v[10:11], v[26:27]
	v_mul_f64 v[10:11], v[10:11], v[24:25]
	;; [unrolled: 1-line block ×3, first 2 shown]
	s_waitcnt lgkmcnt(0)
	v_mul_f64 v[16:17], v[14:15], v[30:31]
	v_mul_f64 v[14:15], v[14:15], v[28:29]
	;; [unrolled: 1-line block ×3, first 2 shown]
	v_add_co_u32_e64 v32, s[0:1], s4, v34
	v_fma_f64 v[4:5], v[8:9], v[24:25], v[6:7]
	v_fma_f64 v[6:7], v[8:9], v[26:27], -v[10:11]
	v_mul_f64 v[2:3], v[2:3], s[2:3]
	v_fma_f64 v[8:9], v[12:13], v[28:29], v[16:17]
	v_fma_f64 v[10:11], v[12:13], v[30:31], -v[14:15]
	v_addc_co_u32_e64 v33, s[0:1], v35, v42, s[0:1]
	v_add_co_u32_e64 v12, s[0:1], s4, v32
	v_mul_f64 v[4:5], v[4:5], s[2:3]
	v_mul_f64 v[6:7], v[6:7], s[2:3]
	;; [unrolled: 1-line block ×4, first 2 shown]
	v_addc_co_u32_e64 v13, s[0:1], v33, v42, s[0:1]
	global_store_dwordx4 v[32:33], v[20:23], off
	global_store_dwordx4 v[12:13], v[0:3], off
	s_nop 0
	v_add_co_u32_e64 v0, s[0:1], s4, v12
	v_addc_co_u32_e64 v1, s[0:1], v13, v42, s[0:1]
	global_store_dwordx4 v[0:1], v[4:7], off
	v_add_co_u32_e64 v0, s[0:1], s4, v0
	v_addc_co_u32_e64 v1, s[0:1], v1, v42, s[0:1]
	global_store_dwordx4 v[0:1], v[8:11], off
	s_and_b64 exec, exec, vcc
	s_cbranch_execz .LBB0_23
; %bb.22:
	s_movk_i32 s0, 0x1000
	v_add_co_u32_e32 v36, vcc, s0, v156
	global_load_dwordx4 v[2:5], v[156:157], off offset:896
	global_load_dwordx4 v[6:9], v[156:157], off offset:2016
	global_load_dwordx4 v[10:13], v[156:157], off offset:3136
	v_addc_co_u32_e32 v37, vcc, 0, v157, vcc
	global_load_dwordx4 v[14:17], v[36:37], off offset:160
	ds_read_b128 v[20:23], v159 offset:896
	ds_read_b128 v[24:27], v159 offset:2016
	ds_read_b128 v[28:31], v159 offset:3136
	ds_read_b128 v[32:35], v159 offset:4256
	v_mov_b32_e32 v38, 0xffffe4e0
	v_mad_u64_u32 v[38:39], s[0:1], s8, v38, v[0:1]
	s_mul_i32 s10, s9, 0xffffe4e0
	s_sub_i32 s0, s10, s8
	v_mov_b32_e32 v50, s5
	v_add_u32_e32 v39, s0, v39
	v_add_co_u32_e32 v40, vcc, s4, v38
	v_addc_co_u32_e32 v41, vcc, v39, v50, vcc
	v_add_co_u32_e32 v42, vcc, s4, v40
	v_addc_co_u32_e32 v43, vcc, v41, v50, vcc
	v_or_b32_e32 v51, 0x150, v160
	v_lshlrev_b32_e32 v52, 4, v51
	s_mul_i32 s5, s9, 0x8c0
	s_waitcnt vmcnt(3) lgkmcnt(3)
	v_mul_f64 v[0:1], v[22:23], v[4:5]
	v_mul_f64 v[4:5], v[20:21], v[4:5]
	s_waitcnt vmcnt(2) lgkmcnt(2)
	v_mul_f64 v[44:45], v[26:27], v[8:9]
	v_mul_f64 v[8:9], v[24:25], v[8:9]
	;; [unrolled: 3-line block ×4, first 2 shown]
	v_fma_f64 v[0:1], v[20:21], v[2:3], v[0:1]
	v_fma_f64 v[2:3], v[2:3], v[22:23], -v[4:5]
	v_fma_f64 v[4:5], v[24:25], v[6:7], v[44:45]
	v_fma_f64 v[6:7], v[6:7], v[26:27], -v[8:9]
	;; [unrolled: 2-line block ×4, first 2 shown]
	v_mul_f64 v[0:1], v[0:1], s[2:3]
	v_mul_f64 v[2:3], v[2:3], s[2:3]
	;; [unrolled: 1-line block ×8, first 2 shown]
	v_add_co_u32_e32 v16, vcc, s4, v42
	v_addc_co_u32_e32 v17, vcc, v43, v50, vcc
	global_store_dwordx4 v[38:39], v[0:3], off
	global_store_dwordx4 v[40:41], v[4:7], off
	;; [unrolled: 1-line block ×4, first 2 shown]
	global_load_dwordx4 v[0:3], v52, s[6:7]
	s_nop 0
	global_load_dwordx4 v[4:7], v[36:37], off offset:2400
	ds_read_b128 v[8:11], v159 offset:5376
	ds_read_b128 v[12:15], v159 offset:6496
	v_mad_u64_u32 v[20:21], s[0:1], s8, v51, 0
	v_mov_b32_e32 v28, 0x8c0
	s_waitcnt vmcnt(1) lgkmcnt(1)
	v_mul_f64 v[22:23], v[10:11], v[2:3]
	v_mul_f64 v[2:3], v[8:9], v[2:3]
	s_waitcnt vmcnt(0) lgkmcnt(0)
	v_mul_f64 v[24:25], v[14:15], v[6:7]
	v_mul_f64 v[6:7], v[12:13], v[6:7]
	v_fma_f64 v[8:9], v[8:9], v[0:1], v[22:23]
	v_fma_f64 v[2:3], v[0:1], v[10:11], -v[2:3]
	v_fma_f64 v[10:11], v[12:13], v[4:5], v[24:25]
	v_fma_f64 v[6:7], v[4:5], v[14:15], -v[6:7]
	v_mad_u64_u32 v[26:27], s[0:1], s9, v51, v[21:22]
	v_mad_u64_u32 v[12:13], s[0:1], s8, v28, v[16:17]
	v_mul_f64 v[0:1], v[8:9], s[2:3]
	v_mul_f64 v[2:3], v[2:3], s[2:3]
	;; [unrolled: 1-line block ×4, first 2 shown]
	v_mov_b32_e32 v21, v26
	v_lshlrev_b64 v[8:9], 4, v[20:21]
	v_add_u32_e32 v13, s5, v13
	v_add_co_u32_e32 v8, vcc, v18, v8
	v_addc_co_u32_e32 v9, vcc, v19, v9, vcc
	global_store_dwordx4 v[8:9], v[0:3], off
	global_store_dwordx4 v[12:13], v[4:7], off
	global_load_dwordx4 v[0:3], v[36:37], off offset:3520
	ds_read_b128 v[4:7], v159 offset:7616
	ds_read_b128 v[8:11], v159 offset:8736
	s_movk_i32 s0, 0x2000
	s_waitcnt vmcnt(0) lgkmcnt(1)
	v_mul_f64 v[14:15], v[6:7], v[2:3]
	v_mul_f64 v[2:3], v[4:5], v[2:3]
	v_fma_f64 v[4:5], v[4:5], v[0:1], v[14:15]
	v_fma_f64 v[2:3], v[0:1], v[6:7], -v[2:3]
	v_mul_f64 v[0:1], v[4:5], s[2:3]
	v_mul_f64 v[2:3], v[2:3], s[2:3]
	v_add_co_u32_e32 v4, vcc, s0, v156
	v_addc_co_u32_e32 v5, vcc, 0, v157, vcc
	v_add_co_u32_e32 v6, vcc, s4, v12
	v_addc_co_u32_e32 v7, vcc, v13, v50, vcc
	global_store_dwordx4 v[6:7], v[0:3], off
	global_load_dwordx4 v[0:3], v[4:5], off offset:544
	s_waitcnt vmcnt(0) lgkmcnt(0)
	v_mul_f64 v[4:5], v[10:11], v[2:3]
	v_mul_f64 v[2:3], v[8:9], v[2:3]
	v_fma_f64 v[4:5], v[8:9], v[0:1], v[4:5]
	v_fma_f64 v[2:3], v[0:1], v[10:11], -v[2:3]
	v_mul_f64 v[0:1], v[4:5], s[2:3]
	v_mul_f64 v[2:3], v[2:3], s[2:3]
	v_add_co_u32_e32 v4, vcc, s4, v6
	v_addc_co_u32_e32 v5, vcc, v7, v50, vcc
	global_store_dwordx4 v[4:5], v[0:3], off
.LBB0_23:
	s_endpgm
	.section	.rodata,"a",@progbits
	.p2align	6, 0x0
	.amdhsa_kernel bluestein_single_fwd_len560_dim1_dp_op_CI_CI
		.amdhsa_group_segment_fixed_size 8960
		.amdhsa_private_segment_fixed_size 0
		.amdhsa_kernarg_size 104
		.amdhsa_user_sgpr_count 6
		.amdhsa_user_sgpr_private_segment_buffer 1
		.amdhsa_user_sgpr_dispatch_ptr 0
		.amdhsa_user_sgpr_queue_ptr 0
		.amdhsa_user_sgpr_kernarg_segment_ptr 1
		.amdhsa_user_sgpr_dispatch_id 0
		.amdhsa_user_sgpr_flat_scratch_init 0
		.amdhsa_user_sgpr_private_segment_size 0
		.amdhsa_uses_dynamic_stack 0
		.amdhsa_system_sgpr_private_segment_wavefront_offset 0
		.amdhsa_system_sgpr_workgroup_id_x 1
		.amdhsa_system_sgpr_workgroup_id_y 0
		.amdhsa_system_sgpr_workgroup_id_z 0
		.amdhsa_system_sgpr_workgroup_info 0
		.amdhsa_system_vgpr_workitem_id 0
		.amdhsa_next_free_vgpr 220
		.amdhsa_next_free_sgpr 32
		.amdhsa_reserve_vcc 1
		.amdhsa_reserve_flat_scratch 0
		.amdhsa_float_round_mode_32 0
		.amdhsa_float_round_mode_16_64 0
		.amdhsa_float_denorm_mode_32 3
		.amdhsa_float_denorm_mode_16_64 3
		.amdhsa_dx10_clamp 1
		.amdhsa_ieee_mode 1
		.amdhsa_fp16_overflow 0
		.amdhsa_exception_fp_ieee_invalid_op 0
		.amdhsa_exception_fp_denorm_src 0
		.amdhsa_exception_fp_ieee_div_zero 0
		.amdhsa_exception_fp_ieee_overflow 0
		.amdhsa_exception_fp_ieee_underflow 0
		.amdhsa_exception_fp_ieee_inexact 0
		.amdhsa_exception_int_div_zero 0
	.end_amdhsa_kernel
	.text
.Lfunc_end0:
	.size	bluestein_single_fwd_len560_dim1_dp_op_CI_CI, .Lfunc_end0-bluestein_single_fwd_len560_dim1_dp_op_CI_CI
                                        ; -- End function
	.section	.AMDGPU.csdata,"",@progbits
; Kernel info:
; codeLenInByte = 14832
; NumSgprs: 36
; NumVgprs: 220
; ScratchSize: 0
; MemoryBound: 0
; FloatMode: 240
; IeeeMode: 1
; LDSByteSize: 8960 bytes/workgroup (compile time only)
; SGPRBlocks: 4
; VGPRBlocks: 54
; NumSGPRsForWavesPerEU: 36
; NumVGPRsForWavesPerEU: 220
; Occupancy: 1
; WaveLimiterHint : 1
; COMPUTE_PGM_RSRC2:SCRATCH_EN: 0
; COMPUTE_PGM_RSRC2:USER_SGPR: 6
; COMPUTE_PGM_RSRC2:TRAP_HANDLER: 0
; COMPUTE_PGM_RSRC2:TGID_X_EN: 1
; COMPUTE_PGM_RSRC2:TGID_Y_EN: 0
; COMPUTE_PGM_RSRC2:TGID_Z_EN: 0
; COMPUTE_PGM_RSRC2:TIDIG_COMP_CNT: 0
	.type	__hip_cuid_cf7f2284e91ae357,@object ; @__hip_cuid_cf7f2284e91ae357
	.section	.bss,"aw",@nobits
	.globl	__hip_cuid_cf7f2284e91ae357
__hip_cuid_cf7f2284e91ae357:
	.byte	0                               ; 0x0
	.size	__hip_cuid_cf7f2284e91ae357, 1

	.ident	"AMD clang version 19.0.0git (https://github.com/RadeonOpenCompute/llvm-project roc-6.4.0 25133 c7fe45cf4b819c5991fe208aaa96edf142730f1d)"
	.section	".note.GNU-stack","",@progbits
	.addrsig
	.addrsig_sym __hip_cuid_cf7f2284e91ae357
	.amdgpu_metadata
---
amdhsa.kernels:
  - .args:
      - .actual_access:  read_only
        .address_space:  global
        .offset:         0
        .size:           8
        .value_kind:     global_buffer
      - .actual_access:  read_only
        .address_space:  global
        .offset:         8
        .size:           8
        .value_kind:     global_buffer
      - .actual_access:  read_only
        .address_space:  global
        .offset:         16
        .size:           8
        .value_kind:     global_buffer
      - .actual_access:  read_only
        .address_space:  global
        .offset:         24
        .size:           8
        .value_kind:     global_buffer
      - .actual_access:  read_only
        .address_space:  global
        .offset:         32
        .size:           8
        .value_kind:     global_buffer
      - .offset:         40
        .size:           8
        .value_kind:     by_value
      - .address_space:  global
        .offset:         48
        .size:           8
        .value_kind:     global_buffer
      - .address_space:  global
        .offset:         56
        .size:           8
        .value_kind:     global_buffer
      - .address_space:  global
        .offset:         64
        .size:           8
        .value_kind:     global_buffer
      - .address_space:  global
        .offset:         72
        .size:           8
        .value_kind:     global_buffer
      - .offset:         80
        .size:           4
        .value_kind:     by_value
      - .address_space:  global
        .offset:         88
        .size:           8
        .value_kind:     global_buffer
      - .address_space:  global
        .offset:         96
        .size:           8
        .value_kind:     global_buffer
    .group_segment_fixed_size: 8960
    .kernarg_segment_align: 8
    .kernarg_segment_size: 104
    .language:       OpenCL C
    .language_version:
      - 2
      - 0
    .max_flat_workgroup_size: 56
    .name:           bluestein_single_fwd_len560_dim1_dp_op_CI_CI
    .private_segment_fixed_size: 0
    .sgpr_count:     36
    .sgpr_spill_count: 0
    .symbol:         bluestein_single_fwd_len560_dim1_dp_op_CI_CI.kd
    .uniform_work_group_size: 1
    .uses_dynamic_stack: false
    .vgpr_count:     220
    .vgpr_spill_count: 0
    .wavefront_size: 64
amdhsa.target:   amdgcn-amd-amdhsa--gfx906
amdhsa.version:
  - 1
  - 2
...

	.end_amdgpu_metadata
